;; amdgpu-corpus repo=ROCm/hipCUB kind=compiled arch=gfx942 opt=O3
	.text
	.amdgcn_target "amdgcn-amd-amdhsa--gfx942"
	.amdhsa_code_object_version 6
	.section	.text._Z6kernelI10flag_headsiLj256ELj1ELb0ELj100EEvPKT0_PS1_,"axG",@progbits,_Z6kernelI10flag_headsiLj256ELj1ELb0ELj100EEvPKT0_PS1_,comdat
	.protected	_Z6kernelI10flag_headsiLj256ELj1ELb0ELj100EEvPKT0_PS1_ ; -- Begin function _Z6kernelI10flag_headsiLj256ELj1ELb0ELj100EEvPKT0_PS1_
	.globl	_Z6kernelI10flag_headsiLj256ELj1ELb0ELj100EEvPKT0_PS1_
	.p2align	8
	.type	_Z6kernelI10flag_headsiLj256ELj1ELb0ELj100EEvPKT0_PS1_,@function
_Z6kernelI10flag_headsiLj256ELj1ELb0ELj100EEvPKT0_PS1_: ; @_Z6kernelI10flag_headsiLj256ELj1ELb0ELj100EEvPKT0_PS1_
; %bb.0:
	s_load_dwordx4 s[4:7], s[0:1], 0x0
	s_lshl_b32 s0, s2, 8
	s_mov_b32 s1, 0
	s_lshl_b64 s[2:3], s[0:1], 2
	v_lshlrev_b32_e32 v2, 2, v0
	s_waitcnt lgkmcnt(0)
	s_add_u32 s0, s4, s2
	s_addc_u32 s1, s5, s3
	global_load_dword v1, v2, s[0:1]
	v_cmp_ne_u32_e32 vcc, 0, v0
	v_add_u32_e32 v3, -4, v2
	s_movk_i32 s8, 0x64
	s_branch .LBB0_2
.LBB0_1:                                ;   in Loop: Header=BB0_2 Depth=1
	s_or_b64 exec, exec, s[4:5]
	s_add_i32 s8, s8, -1
	v_add_u32_e32 v1, v4, v1
	s_cmp_lg_u32 s8, 0
	s_barrier
	s_cbranch_scc0 .LBB0_4
.LBB0_2:                                ; =>This Inner Loop Header: Depth=1
	v_mov_b32_e32 v4, 1
	s_waitcnt vmcnt(0)
	ds_write_b32 v2, v1
	s_waitcnt lgkmcnt(0)
	s_barrier
	s_and_saveexec_b64 s[4:5], vcc
	s_cbranch_execz .LBB0_1
; %bb.3:                                ;   in Loop: Header=BB0_2 Depth=1
	ds_read_b32 v4, v3
	s_waitcnt lgkmcnt(0)
	v_cmp_eq_u32_e64 s[0:1], v4, v1
	s_nop 1
	v_cndmask_b32_e64 v4, 0, 1, s[0:1]
	s_branch .LBB0_1
.LBB0_4:
	s_add_u32 s0, s6, s2
	s_addc_u32 s1, s7, s3
	v_lshlrev_b32_e32 v0, 2, v0
	global_store_dword v0, v1, s[0:1]
	s_endpgm
	.section	.rodata,"a",@progbits
	.p2align	6, 0x0
	.amdhsa_kernel _Z6kernelI10flag_headsiLj256ELj1ELb0ELj100EEvPKT0_PS1_
		.amdhsa_group_segment_fixed_size 2048
		.amdhsa_private_segment_fixed_size 0
		.amdhsa_kernarg_size 16
		.amdhsa_user_sgpr_count 2
		.amdhsa_user_sgpr_dispatch_ptr 0
		.amdhsa_user_sgpr_queue_ptr 0
		.amdhsa_user_sgpr_kernarg_segment_ptr 1
		.amdhsa_user_sgpr_dispatch_id 0
		.amdhsa_user_sgpr_kernarg_preload_length 0
		.amdhsa_user_sgpr_kernarg_preload_offset 0
		.amdhsa_user_sgpr_private_segment_size 0
		.amdhsa_uses_dynamic_stack 0
		.amdhsa_enable_private_segment 0
		.amdhsa_system_sgpr_workgroup_id_x 1
		.amdhsa_system_sgpr_workgroup_id_y 0
		.amdhsa_system_sgpr_workgroup_id_z 0
		.amdhsa_system_sgpr_workgroup_info 0
		.amdhsa_system_vgpr_workitem_id 0
		.amdhsa_next_free_vgpr 5
		.amdhsa_next_free_sgpr 9
		.amdhsa_accum_offset 8
		.amdhsa_reserve_vcc 1
		.amdhsa_float_round_mode_32 0
		.amdhsa_float_round_mode_16_64 0
		.amdhsa_float_denorm_mode_32 3
		.amdhsa_float_denorm_mode_16_64 3
		.amdhsa_dx10_clamp 1
		.amdhsa_ieee_mode 1
		.amdhsa_fp16_overflow 0
		.amdhsa_tg_split 0
		.amdhsa_exception_fp_ieee_invalid_op 0
		.amdhsa_exception_fp_denorm_src 0
		.amdhsa_exception_fp_ieee_div_zero 0
		.amdhsa_exception_fp_ieee_overflow 0
		.amdhsa_exception_fp_ieee_underflow 0
		.amdhsa_exception_fp_ieee_inexact 0
		.amdhsa_exception_int_div_zero 0
	.end_amdhsa_kernel
	.section	.text._Z6kernelI10flag_headsiLj256ELj1ELb0ELj100EEvPKT0_PS1_,"axG",@progbits,_Z6kernelI10flag_headsiLj256ELj1ELb0ELj100EEvPKT0_PS1_,comdat
.Lfunc_end0:
	.size	_Z6kernelI10flag_headsiLj256ELj1ELb0ELj100EEvPKT0_PS1_, .Lfunc_end0-_Z6kernelI10flag_headsiLj256ELj1ELb0ELj100EEvPKT0_PS1_
                                        ; -- End function
	.section	.AMDGPU.csdata,"",@progbits
; Kernel info:
; codeLenInByte = 176
; NumSgprs: 15
; NumVgprs: 5
; NumAgprs: 0
; TotalNumVgprs: 5
; ScratchSize: 0
; MemoryBound: 0
; FloatMode: 240
; IeeeMode: 1
; LDSByteSize: 2048 bytes/workgroup (compile time only)
; SGPRBlocks: 1
; VGPRBlocks: 0
; NumSGPRsForWavesPerEU: 15
; NumVGPRsForWavesPerEU: 5
; AccumOffset: 8
; Occupancy: 8
; WaveLimiterHint : 0
; COMPUTE_PGM_RSRC2:SCRATCH_EN: 0
; COMPUTE_PGM_RSRC2:USER_SGPR: 2
; COMPUTE_PGM_RSRC2:TRAP_HANDLER: 0
; COMPUTE_PGM_RSRC2:TGID_X_EN: 1
; COMPUTE_PGM_RSRC2:TGID_Y_EN: 0
; COMPUTE_PGM_RSRC2:TGID_Z_EN: 0
; COMPUTE_PGM_RSRC2:TIDIG_COMP_CNT: 0
; COMPUTE_PGM_RSRC3_GFX90A:ACCUM_OFFSET: 1
; COMPUTE_PGM_RSRC3_GFX90A:TG_SPLIT: 0
	.section	.text._Z6kernelI10flag_headsiLj256ELj2ELb0ELj100EEvPKT0_PS1_,"axG",@progbits,_Z6kernelI10flag_headsiLj256ELj2ELb0ELj100EEvPKT0_PS1_,comdat
	.protected	_Z6kernelI10flag_headsiLj256ELj2ELb0ELj100EEvPKT0_PS1_ ; -- Begin function _Z6kernelI10flag_headsiLj256ELj2ELb0ELj100EEvPKT0_PS1_
	.globl	_Z6kernelI10flag_headsiLj256ELj2ELb0ELj100EEvPKT0_PS1_
	.p2align	8
	.type	_Z6kernelI10flag_headsiLj256ELj2ELb0ELj100EEvPKT0_PS1_,@function
_Z6kernelI10flag_headsiLj256ELj2ELb0ELj100EEvPKT0_PS1_: ; @_Z6kernelI10flag_headsiLj256ELj2ELb0ELj100EEvPKT0_PS1_
; %bb.0:
	s_load_dwordx4 s[4:7], s[0:1], 0x0
	s_lshl_b32 s0, s2, 9
	s_mov_b32 s1, 0
	s_lshl_b64 s[2:3], s[0:1], 2
	v_lshlrev_b32_e32 v3, 2, v0
	s_waitcnt lgkmcnt(0)
	s_add_u32 s0, s4, s2
	s_addc_u32 s1, s5, s3
	global_load_dword v1, v3, s[0:1]
	global_load_dword v2, v3, s[0:1] offset:1024
	v_cmp_ne_u32_e32 vcc, 0, v0
	v_add_u32_e32 v4, -4, v3
	s_movk_i32 s8, 0x64
	s_branch .LBB1_2
.LBB1_1:                                ;   in Loop: Header=BB1_2 Depth=1
	s_or_b64 exec, exec, s[4:5]
	s_add_i32 s8, s8, -1
	v_add_u32_sdwa v1, v1, v5 dst_sel:DWORD dst_unused:UNUSED_PAD src0_sel:DWORD src1_sel:BYTE_0
	v_add_u32_sdwa v2, v2, v5 dst_sel:DWORD dst_unused:UNUSED_PAD src0_sel:DWORD src1_sel:BYTE_1
	s_cmp_lg_u32 s8, 0
	s_barrier
	s_cbranch_scc0 .LBB1_4
.LBB1_2:                                ; =>This Inner Loop Header: Depth=1
	s_waitcnt vmcnt(0)
	v_cmp_eq_u32_e64 s[0:1], v1, v2
	ds_write_b32 v3, v2
	s_waitcnt lgkmcnt(0)
	v_cndmask_b32_e64 v5, 0, 1, s[0:1]
	v_lshlrev_b16_e32 v5, 8, v5
	v_or_b32_e32 v5, 1, v5
	v_and_b32_e32 v5, 0xffff, v5
	s_barrier
	s_and_saveexec_b64 s[4:5], vcc
	s_cbranch_execz .LBB1_1
; %bb.3:                                ;   in Loop: Header=BB1_2 Depth=1
	ds_read_b32 v6, v4
	v_and_b32_e32 v5, 0x100, v5
	s_waitcnt lgkmcnt(0)
	v_cmp_eq_u32_e64 s[0:1], v6, v1
	s_nop 1
	v_cndmask_b32_e64 v6, 0, 1, s[0:1]
	v_or_b32_e32 v5, v6, v5
	v_and_b32_e32 v5, 0xffff, v5
	s_branch .LBB1_1
.LBB1_4:
	s_add_u32 s0, s6, s2
	s_addc_u32 s1, s7, s3
	v_lshlrev_b32_e32 v0, 2, v0
	global_store_dword v0, v1, s[0:1]
	global_store_dword v0, v2, s[0:1] offset:1024
	s_endpgm
	.section	.rodata,"a",@progbits
	.p2align	6, 0x0
	.amdhsa_kernel _Z6kernelI10flag_headsiLj256ELj2ELb0ELj100EEvPKT0_PS1_
		.amdhsa_group_segment_fixed_size 2048
		.amdhsa_private_segment_fixed_size 0
		.amdhsa_kernarg_size 16
		.amdhsa_user_sgpr_count 2
		.amdhsa_user_sgpr_dispatch_ptr 0
		.amdhsa_user_sgpr_queue_ptr 0
		.amdhsa_user_sgpr_kernarg_segment_ptr 1
		.amdhsa_user_sgpr_dispatch_id 0
		.amdhsa_user_sgpr_kernarg_preload_length 0
		.amdhsa_user_sgpr_kernarg_preload_offset 0
		.amdhsa_user_sgpr_private_segment_size 0
		.amdhsa_uses_dynamic_stack 0
		.amdhsa_enable_private_segment 0
		.amdhsa_system_sgpr_workgroup_id_x 1
		.amdhsa_system_sgpr_workgroup_id_y 0
		.amdhsa_system_sgpr_workgroup_id_z 0
		.amdhsa_system_sgpr_workgroup_info 0
		.amdhsa_system_vgpr_workitem_id 0
		.amdhsa_next_free_vgpr 7
		.amdhsa_next_free_sgpr 9
		.amdhsa_accum_offset 8
		.amdhsa_reserve_vcc 1
		.amdhsa_float_round_mode_32 0
		.amdhsa_float_round_mode_16_64 0
		.amdhsa_float_denorm_mode_32 3
		.amdhsa_float_denorm_mode_16_64 3
		.amdhsa_dx10_clamp 1
		.amdhsa_ieee_mode 1
		.amdhsa_fp16_overflow 0
		.amdhsa_tg_split 0
		.amdhsa_exception_fp_ieee_invalid_op 0
		.amdhsa_exception_fp_denorm_src 0
		.amdhsa_exception_fp_ieee_div_zero 0
		.amdhsa_exception_fp_ieee_overflow 0
		.amdhsa_exception_fp_ieee_underflow 0
		.amdhsa_exception_fp_ieee_inexact 0
		.amdhsa_exception_int_div_zero 0
	.end_amdhsa_kernel
	.section	.text._Z6kernelI10flag_headsiLj256ELj2ELb0ELj100EEvPKT0_PS1_,"axG",@progbits,_Z6kernelI10flag_headsiLj256ELj2ELb0ELj100EEvPKT0_PS1_,comdat
.Lfunc_end1:
	.size	_Z6kernelI10flag_headsiLj256ELj2ELb0ELj100EEvPKT0_PS1_, .Lfunc_end1-_Z6kernelI10flag_headsiLj256ELj2ELb0ELj100EEvPKT0_PS1_
                                        ; -- End function
	.section	.AMDGPU.csdata,"",@progbits
; Kernel info:
; codeLenInByte = 252
; NumSgprs: 15
; NumVgprs: 7
; NumAgprs: 0
; TotalNumVgprs: 7
; ScratchSize: 0
; MemoryBound: 0
; FloatMode: 240
; IeeeMode: 1
; LDSByteSize: 2048 bytes/workgroup (compile time only)
; SGPRBlocks: 1
; VGPRBlocks: 0
; NumSGPRsForWavesPerEU: 15
; NumVGPRsForWavesPerEU: 7
; AccumOffset: 8
; Occupancy: 8
; WaveLimiterHint : 1
; COMPUTE_PGM_RSRC2:SCRATCH_EN: 0
; COMPUTE_PGM_RSRC2:USER_SGPR: 2
; COMPUTE_PGM_RSRC2:TRAP_HANDLER: 0
; COMPUTE_PGM_RSRC2:TGID_X_EN: 1
; COMPUTE_PGM_RSRC2:TGID_Y_EN: 0
; COMPUTE_PGM_RSRC2:TGID_Z_EN: 0
; COMPUTE_PGM_RSRC2:TIDIG_COMP_CNT: 0
; COMPUTE_PGM_RSRC3_GFX90A:ACCUM_OFFSET: 1
; COMPUTE_PGM_RSRC3_GFX90A:TG_SPLIT: 0
	.section	.text._Z6kernelI10flag_headsiLj256ELj3ELb0ELj100EEvPKT0_PS1_,"axG",@progbits,_Z6kernelI10flag_headsiLj256ELj3ELb0ELj100EEvPKT0_PS1_,comdat
	.protected	_Z6kernelI10flag_headsiLj256ELj3ELb0ELj100EEvPKT0_PS1_ ; -- Begin function _Z6kernelI10flag_headsiLj256ELj3ELb0ELj100EEvPKT0_PS1_
	.globl	_Z6kernelI10flag_headsiLj256ELj3ELb0ELj100EEvPKT0_PS1_
	.p2align	8
	.type	_Z6kernelI10flag_headsiLj256ELj3ELb0ELj100EEvPKT0_PS1_,@function
_Z6kernelI10flag_headsiLj256ELj3ELb0ELj100EEvPKT0_PS1_: ; @_Z6kernelI10flag_headsiLj256ELj3ELb0ELj100EEvPKT0_PS1_
; %bb.0:
	s_load_dwordx4 s[4:7], s[0:1], 0x0
	s_mul_i32 s0, s2, 0x300
	s_mov_b32 s1, 0
	s_lshl_b64 s[2:3], s[0:1], 2
	v_lshlrev_b32_e32 v4, 2, v0
	s_waitcnt lgkmcnt(0)
	s_add_u32 s0, s4, s2
	s_addc_u32 s1, s5, s3
	global_load_dword v1, v4, s[0:1]
	global_load_dword v2, v4, s[0:1] offset:1024
	global_load_dword v3, v4, s[0:1] offset:2048
	v_cmp_ne_u32_e32 vcc, 0, v0
	v_add_u32_e32 v5, -4, v4
	s_movk_i32 s8, 0x64
	s_mov_b32 s9, 0x10000
	v_mov_b32_e32 v6, 8
	s_branch .LBB2_2
.LBB2_1:                                ;   in Loop: Header=BB2_2 Depth=1
	s_or_b64 exec, exec, s[4:5]
	s_add_i32 s8, s8, -1
	v_add_u32_sdwa v1, v1, v7 dst_sel:DWORD dst_unused:UNUSED_PAD src0_sel:DWORD src1_sel:BYTE_0
	v_add_u32_sdwa v2, v2, v7 dst_sel:DWORD dst_unused:UNUSED_PAD src0_sel:DWORD src1_sel:BYTE_1
	v_add_u32_sdwa v3, v3, v7 dst_sel:DWORD dst_unused:UNUSED_PAD src0_sel:DWORD src1_sel:WORD_1
	s_cmp_lg_u32 s8, 0
	s_barrier
	s_cbranch_scc0 .LBB2_4
.LBB2_2:                                ; =>This Inner Loop Header: Depth=1
	s_waitcnt vmcnt(1)
	v_cmp_eq_u32_e64 s[0:1], v1, v2
	s_waitcnt vmcnt(0)
	ds_write_b32 v4, v3
	s_waitcnt lgkmcnt(0)
	v_cndmask_b32_e64 v7, 0, 1, s[0:1]
	v_lshlrev_b16_e32 v7, 8, v7
	v_or_b32_e32 v7, 1, v7
	v_cmp_eq_u32_e64 s[0:1], v2, v3
	v_and_b32_e32 v7, 0xffff, v7
	s_barrier
	v_cndmask_b32_e64 v8, 0, 1, s[0:1]
	v_lshl_or_b32 v7, v8, 16, v7
	s_and_saveexec_b64 s[4:5], vcc
	s_cbranch_execz .LBB2_1
; %bb.3:                                ;   in Loop: Header=BB2_2 Depth=1
	ds_read_b32 v8, v5
	v_lshrrev_b32_sdwa v9, v6, v7 dst_sel:BYTE_1 dst_unused:UNUSED_PAD src0_sel:DWORD src1_sel:DWORD
	s_waitcnt lgkmcnt(0)
	v_cmp_eq_u32_e64 s[0:1], v8, v1
	s_nop 1
	v_cndmask_b32_e64 v8, 0, 1, s[0:1]
	v_or_b32_e32 v8, v8, v9
	v_and_b32_e32 v8, 0xffff, v8
	v_and_or_b32 v7, v7, s9, v8
	s_branch .LBB2_1
.LBB2_4:
	s_add_u32 s0, s6, s2
	s_addc_u32 s1, s7, s3
	v_lshlrev_b32_e32 v0, 2, v0
	global_store_dword v0, v1, s[0:1]
	global_store_dword v0, v2, s[0:1] offset:1024
	global_store_dword v0, v3, s[0:1] offset:2048
	s_endpgm
	.section	.rodata,"a",@progbits
	.p2align	6, 0x0
	.amdhsa_kernel _Z6kernelI10flag_headsiLj256ELj3ELb0ELj100EEvPKT0_PS1_
		.amdhsa_group_segment_fixed_size 2048
		.amdhsa_private_segment_fixed_size 0
		.amdhsa_kernarg_size 16
		.amdhsa_user_sgpr_count 2
		.amdhsa_user_sgpr_dispatch_ptr 0
		.amdhsa_user_sgpr_queue_ptr 0
		.amdhsa_user_sgpr_kernarg_segment_ptr 1
		.amdhsa_user_sgpr_dispatch_id 0
		.amdhsa_user_sgpr_kernarg_preload_length 0
		.amdhsa_user_sgpr_kernarg_preload_offset 0
		.amdhsa_user_sgpr_private_segment_size 0
		.amdhsa_uses_dynamic_stack 0
		.amdhsa_enable_private_segment 0
		.amdhsa_system_sgpr_workgroup_id_x 1
		.amdhsa_system_sgpr_workgroup_id_y 0
		.amdhsa_system_sgpr_workgroup_id_z 0
		.amdhsa_system_sgpr_workgroup_info 0
		.amdhsa_system_vgpr_workitem_id 0
		.amdhsa_next_free_vgpr 10
		.amdhsa_next_free_sgpr 10
		.amdhsa_accum_offset 12
		.amdhsa_reserve_vcc 1
		.amdhsa_float_round_mode_32 0
		.amdhsa_float_round_mode_16_64 0
		.amdhsa_float_denorm_mode_32 3
		.amdhsa_float_denorm_mode_16_64 3
		.amdhsa_dx10_clamp 1
		.amdhsa_ieee_mode 1
		.amdhsa_fp16_overflow 0
		.amdhsa_tg_split 0
		.amdhsa_exception_fp_ieee_invalid_op 0
		.amdhsa_exception_fp_denorm_src 0
		.amdhsa_exception_fp_ieee_div_zero 0
		.amdhsa_exception_fp_ieee_overflow 0
		.amdhsa_exception_fp_ieee_underflow 0
		.amdhsa_exception_fp_ieee_inexact 0
		.amdhsa_exception_int_div_zero 0
	.end_amdhsa_kernel
	.section	.text._Z6kernelI10flag_headsiLj256ELj3ELb0ELj100EEvPKT0_PS1_,"axG",@progbits,_Z6kernelI10flag_headsiLj256ELj3ELb0ELj100EEvPKT0_PS1_,comdat
.Lfunc_end2:
	.size	_Z6kernelI10flag_headsiLj256ELj3ELb0ELj100EEvPKT0_PS1_, .Lfunc_end2-_Z6kernelI10flag_headsiLj256ELj3ELb0ELj100EEvPKT0_PS1_
                                        ; -- End function
	.section	.AMDGPU.csdata,"",@progbits
; Kernel info:
; codeLenInByte = 328
; NumSgprs: 16
; NumVgprs: 10
; NumAgprs: 0
; TotalNumVgprs: 10
; ScratchSize: 0
; MemoryBound: 0
; FloatMode: 240
; IeeeMode: 1
; LDSByteSize: 2048 bytes/workgroup (compile time only)
; SGPRBlocks: 1
; VGPRBlocks: 1
; NumSGPRsForWavesPerEU: 16
; NumVGPRsForWavesPerEU: 10
; AccumOffset: 12
; Occupancy: 8
; WaveLimiterHint : 1
; COMPUTE_PGM_RSRC2:SCRATCH_EN: 0
; COMPUTE_PGM_RSRC2:USER_SGPR: 2
; COMPUTE_PGM_RSRC2:TRAP_HANDLER: 0
; COMPUTE_PGM_RSRC2:TGID_X_EN: 1
; COMPUTE_PGM_RSRC2:TGID_Y_EN: 0
; COMPUTE_PGM_RSRC2:TGID_Z_EN: 0
; COMPUTE_PGM_RSRC2:TIDIG_COMP_CNT: 0
; COMPUTE_PGM_RSRC3_GFX90A:ACCUM_OFFSET: 2
; COMPUTE_PGM_RSRC3_GFX90A:TG_SPLIT: 0
	.section	.text._Z6kernelI10flag_headsiLj256ELj4ELb0ELj100EEvPKT0_PS1_,"axG",@progbits,_Z6kernelI10flag_headsiLj256ELj4ELb0ELj100EEvPKT0_PS1_,comdat
	.protected	_Z6kernelI10flag_headsiLj256ELj4ELb0ELj100EEvPKT0_PS1_ ; -- Begin function _Z6kernelI10flag_headsiLj256ELj4ELb0ELj100EEvPKT0_PS1_
	.globl	_Z6kernelI10flag_headsiLj256ELj4ELb0ELj100EEvPKT0_PS1_
	.p2align	8
	.type	_Z6kernelI10flag_headsiLj256ELj4ELb0ELj100EEvPKT0_PS1_,@function
_Z6kernelI10flag_headsiLj256ELj4ELb0ELj100EEvPKT0_PS1_: ; @_Z6kernelI10flag_headsiLj256ELj4ELb0ELj100EEvPKT0_PS1_
; %bb.0:
	s_load_dwordx4 s[4:7], s[0:1], 0x0
	s_lshl_b32 s0, s2, 10
	s_mov_b32 s1, 0
	s_lshl_b64 s[2:3], s[0:1], 2
	v_lshlrev_b32_e32 v5, 2, v0
	s_waitcnt lgkmcnt(0)
	s_add_u32 s0, s4, s2
	s_addc_u32 s1, s5, s3
	global_load_dword v1, v5, s[0:1]
	global_load_dword v2, v5, s[0:1] offset:1024
	global_load_dword v3, v5, s[0:1] offset:2048
	;; [unrolled: 1-line block ×3, first 2 shown]
	v_cmp_ne_u32_e32 vcc, 0, v0
	v_add_u32_e32 v6, -4, v5
	s_movk_i32 s8, 0x64
	s_mov_b32 s9, 0x1ff0000
	s_branch .LBB3_2
.LBB3_1:                                ;   in Loop: Header=BB3_2 Depth=1
	s_or_b64 exec, exec, s[4:5]
	s_add_i32 s8, s8, -1
	v_add_u32_sdwa v1, v1, v7 dst_sel:DWORD dst_unused:UNUSED_PAD src0_sel:DWORD src1_sel:BYTE_0
	v_add_u32_sdwa v2, v2, v7 dst_sel:DWORD dst_unused:UNUSED_PAD src0_sel:DWORD src1_sel:BYTE_1
	v_add_u32_sdwa v3, v3, v7 dst_sel:DWORD dst_unused:UNUSED_PAD src0_sel:DWORD src1_sel:BYTE_2
	v_add_u32_sdwa v4, v4, v7 dst_sel:DWORD dst_unused:UNUSED_PAD src0_sel:DWORD src1_sel:BYTE_3
	s_cmp_lg_u32 s8, 0
	s_barrier
	s_cbranch_scc0 .LBB3_4
.LBB3_2:                                ; =>This Inner Loop Header: Depth=1
	s_waitcnt vmcnt(0)
	v_cmp_eq_u32_e64 s[0:1], v3, v4
	ds_write_b32 v5, v4
	s_waitcnt lgkmcnt(0)
	v_cndmask_b32_e64 v7, 0, 1, s[0:1]
	v_cmp_eq_u32_e64 s[0:1], v2, v3
	v_lshlrev_b16_e32 v7, 8, v7
	s_barrier
	v_cndmask_b32_e64 v8, 0, 1, s[0:1]
	v_cmp_eq_u32_e64 s[0:1], v1, v2
	v_or_b32_sdwa v7, v8, v7 dst_sel:WORD_1 dst_unused:UNUSED_PAD src0_sel:DWORD src1_sel:DWORD
	s_nop 0
	v_cndmask_b32_e64 v9, 0, 1, s[0:1]
	v_lshlrev_b16_e32 v8, 8, v9
	v_or_b32_e32 v8, 1, v8
	v_or_b32_sdwa v7, v8, v7 dst_sel:DWORD dst_unused:UNUSED_PAD src0_sel:WORD_0 src1_sel:DWORD
	s_and_saveexec_b64 s[4:5], vcc
	s_cbranch_execz .LBB3_1
; %bb.3:                                ;   in Loop: Header=BB3_2 Depth=1
	ds_read_b32 v8, v6
	v_and_b32_e32 v9, 0xffffff00, v7
	s_waitcnt lgkmcnt(0)
	v_cmp_eq_u32_e64 s[0:1], v8, v1
	s_nop 1
	v_cndmask_b32_e64 v8, 0, 1, s[0:1]
	v_or_b32_e32 v8, v8, v9
	v_and_b32_e32 v8, 0xffff, v8
	v_and_or_b32 v7, v7, s9, v8
	s_branch .LBB3_1
.LBB3_4:
	s_add_u32 s0, s6, s2
	s_addc_u32 s1, s7, s3
	v_lshlrev_b32_e32 v0, 2, v0
	global_store_dword v0, v1, s[0:1]
	global_store_dword v0, v2, s[0:1] offset:1024
	global_store_dword v0, v3, s[0:1] offset:2048
	global_store_dword v0, v4, s[0:1] offset:3072
	s_endpgm
	.section	.rodata,"a",@progbits
	.p2align	6, 0x0
	.amdhsa_kernel _Z6kernelI10flag_headsiLj256ELj4ELb0ELj100EEvPKT0_PS1_
		.amdhsa_group_segment_fixed_size 2048
		.amdhsa_private_segment_fixed_size 0
		.amdhsa_kernarg_size 16
		.amdhsa_user_sgpr_count 2
		.amdhsa_user_sgpr_dispatch_ptr 0
		.amdhsa_user_sgpr_queue_ptr 0
		.amdhsa_user_sgpr_kernarg_segment_ptr 1
		.amdhsa_user_sgpr_dispatch_id 0
		.amdhsa_user_sgpr_kernarg_preload_length 0
		.amdhsa_user_sgpr_kernarg_preload_offset 0
		.amdhsa_user_sgpr_private_segment_size 0
		.amdhsa_uses_dynamic_stack 0
		.amdhsa_enable_private_segment 0
		.amdhsa_system_sgpr_workgroup_id_x 1
		.amdhsa_system_sgpr_workgroup_id_y 0
		.amdhsa_system_sgpr_workgroup_id_z 0
		.amdhsa_system_sgpr_workgroup_info 0
		.amdhsa_system_vgpr_workitem_id 0
		.amdhsa_next_free_vgpr 10
		.amdhsa_next_free_sgpr 10
		.amdhsa_accum_offset 12
		.amdhsa_reserve_vcc 1
		.amdhsa_float_round_mode_32 0
		.amdhsa_float_round_mode_16_64 0
		.amdhsa_float_denorm_mode_32 3
		.amdhsa_float_denorm_mode_16_64 3
		.amdhsa_dx10_clamp 1
		.amdhsa_ieee_mode 1
		.amdhsa_fp16_overflow 0
		.amdhsa_tg_split 0
		.amdhsa_exception_fp_ieee_invalid_op 0
		.amdhsa_exception_fp_denorm_src 0
		.amdhsa_exception_fp_ieee_div_zero 0
		.amdhsa_exception_fp_ieee_overflow 0
		.amdhsa_exception_fp_ieee_underflow 0
		.amdhsa_exception_fp_ieee_inexact 0
		.amdhsa_exception_int_div_zero 0
	.end_amdhsa_kernel
	.section	.text._Z6kernelI10flag_headsiLj256ELj4ELb0ELj100EEvPKT0_PS1_,"axG",@progbits,_Z6kernelI10flag_headsiLj256ELj4ELb0ELj100EEvPKT0_PS1_,comdat
.Lfunc_end3:
	.size	_Z6kernelI10flag_headsiLj256ELj4ELb0ELj100EEvPKT0_PS1_, .Lfunc_end3-_Z6kernelI10flag_headsiLj256ELj4ELb0ELj100EEvPKT0_PS1_
                                        ; -- End function
	.section	.AMDGPU.csdata,"",@progbits
; Kernel info:
; codeLenInByte = 364
; NumSgprs: 16
; NumVgprs: 10
; NumAgprs: 0
; TotalNumVgprs: 10
; ScratchSize: 0
; MemoryBound: 0
; FloatMode: 240
; IeeeMode: 1
; LDSByteSize: 2048 bytes/workgroup (compile time only)
; SGPRBlocks: 1
; VGPRBlocks: 1
; NumSGPRsForWavesPerEU: 16
; NumVGPRsForWavesPerEU: 10
; AccumOffset: 12
; Occupancy: 8
; WaveLimiterHint : 1
; COMPUTE_PGM_RSRC2:SCRATCH_EN: 0
; COMPUTE_PGM_RSRC2:USER_SGPR: 2
; COMPUTE_PGM_RSRC2:TRAP_HANDLER: 0
; COMPUTE_PGM_RSRC2:TGID_X_EN: 1
; COMPUTE_PGM_RSRC2:TGID_Y_EN: 0
; COMPUTE_PGM_RSRC2:TGID_Z_EN: 0
; COMPUTE_PGM_RSRC2:TIDIG_COMP_CNT: 0
; COMPUTE_PGM_RSRC3_GFX90A:ACCUM_OFFSET: 2
; COMPUTE_PGM_RSRC3_GFX90A:TG_SPLIT: 0
	.section	.text._Z6kernelI10flag_headsiLj256ELj8ELb0ELj100EEvPKT0_PS1_,"axG",@progbits,_Z6kernelI10flag_headsiLj256ELj8ELb0ELj100EEvPKT0_PS1_,comdat
	.protected	_Z6kernelI10flag_headsiLj256ELj8ELb0ELj100EEvPKT0_PS1_ ; -- Begin function _Z6kernelI10flag_headsiLj256ELj8ELb0ELj100EEvPKT0_PS1_
	.globl	_Z6kernelI10flag_headsiLj256ELj8ELb0ELj100EEvPKT0_PS1_
	.p2align	8
	.type	_Z6kernelI10flag_headsiLj256ELj8ELb0ELj100EEvPKT0_PS1_,@function
_Z6kernelI10flag_headsiLj256ELj8ELb0ELj100EEvPKT0_PS1_: ; @_Z6kernelI10flag_headsiLj256ELj8ELb0ELj100EEvPKT0_PS1_
; %bb.0:
	s_load_dwordx4 s[12:15], s[0:1], 0x0
	s_lshl_b32 s0, s2, 11
	s_mov_b32 s1, 0
	s_lshl_b64 s[16:17], s[0:1], 2
	v_mov_b32_e32 v3, 0
	s_waitcnt lgkmcnt(0)
	s_add_u32 s0, s12, s16
	s_addc_u32 s1, s13, s17
	v_lshlrev_b32_e32 v2, 2, v0
	v_lshl_add_u64 v[6:7], s[0:1], 0, v[2:3]
	v_add_co_u32_e32 v10, vcc, 0x1000, v6
	global_load_dword v1, v2, s[0:1] offset:1024
	global_load_dword v3, v2, s[0:1] offset:2048
	global_load_dword v4, v2, s[0:1] offset:3072
	v_addc_co_u32_e32 v11, vcc, 0, v7, vcc
	global_load_dword v5, v[10:11], off
	global_load_dword v6, v[10:11], off offset:1024
	global_load_dword v7, v[10:11], off offset:2048
	global_load_dword v9, v2, s[0:1]
	global_load_dword v8, v[10:11], off offset:3072
	v_cmp_ne_u32_e32 vcc, 0, v0
	v_add_u32_e32 v10, -4, v2
	s_movk_i32 s18, 0x64
	s_branch .LBB4_2
.LBB4_1:                                ;   in Loop: Header=BB4_2 Depth=1
	s_or_b64 exec, exec, s[2:3]
	v_cmp_eq_u32_e64 s[0:1], v7, v8
	v_cmp_eq_u32_e64 s[2:3], v6, v7
	;; [unrolled: 1-line block ×7, first 2 shown]
	s_add_i32 s18, s18, -1
	v_add_u32_e32 v9, v11, v9
	v_addc_co_u32_e64 v1, s[12:13], 0, v1, s[12:13]
	v_addc_co_u32_e64 v3, s[10:11], 0, v3, s[10:11]
	;; [unrolled: 1-line block ×7, first 2 shown]
	s_cmp_lg_u32 s18, 0
	s_barrier
	s_cbranch_scc0 .LBB4_4
.LBB4_2:                                ; =>This Inner Loop Header: Depth=1
	v_mov_b32_e32 v11, 1
	s_waitcnt vmcnt(0)
	ds_write_b32 v2, v8
	s_waitcnt lgkmcnt(0)
	s_barrier
	s_and_saveexec_b64 s[2:3], vcc
	s_cbranch_execz .LBB4_1
; %bb.3:                                ;   in Loop: Header=BB4_2 Depth=1
	ds_read_b32 v11, v10
	s_waitcnt lgkmcnt(0)
	v_cmp_eq_u32_e64 s[0:1], v11, v9
	s_nop 1
	v_cndmask_b32_e64 v11, 0, 1, s[0:1]
	s_branch .LBB4_1
.LBB4_4:
	s_add_u32 s0, s14, s16
	s_addc_u32 s1, s15, s17
	v_lshlrev_b32_e32 v10, 2, v0
	v_mov_b32_e32 v11, 0
	v_lshl_add_u64 v[12:13], s[0:1], 0, v[10:11]
	v_add_co_u32_e32 v0, vcc, 0x1000, v12
	global_store_dword v10, v9, s[0:1]
	global_store_dword v10, v1, s[0:1] offset:1024
	global_store_dword v10, v3, s[0:1] offset:2048
	;; [unrolled: 1-line block ×3, first 2 shown]
	v_addc_co_u32_e32 v1, vcc, 0, v13, vcc
	global_store_dword v[0:1], v5, off
	global_store_dword v[0:1], v6, off offset:1024
	global_store_dword v[0:1], v7, off offset:2048
	;; [unrolled: 1-line block ×3, first 2 shown]
	s_endpgm
	.section	.rodata,"a",@progbits
	.p2align	6, 0x0
	.amdhsa_kernel _Z6kernelI10flag_headsiLj256ELj8ELb0ELj100EEvPKT0_PS1_
		.amdhsa_group_segment_fixed_size 2048
		.amdhsa_private_segment_fixed_size 0
		.amdhsa_kernarg_size 16
		.amdhsa_user_sgpr_count 2
		.amdhsa_user_sgpr_dispatch_ptr 0
		.amdhsa_user_sgpr_queue_ptr 0
		.amdhsa_user_sgpr_kernarg_segment_ptr 1
		.amdhsa_user_sgpr_dispatch_id 0
		.amdhsa_user_sgpr_kernarg_preload_length 0
		.amdhsa_user_sgpr_kernarg_preload_offset 0
		.amdhsa_user_sgpr_private_segment_size 0
		.amdhsa_uses_dynamic_stack 0
		.amdhsa_enable_private_segment 0
		.amdhsa_system_sgpr_workgroup_id_x 1
		.amdhsa_system_sgpr_workgroup_id_y 0
		.amdhsa_system_sgpr_workgroup_id_z 0
		.amdhsa_system_sgpr_workgroup_info 0
		.amdhsa_system_vgpr_workitem_id 0
		.amdhsa_next_free_vgpr 14
		.amdhsa_next_free_sgpr 19
		.amdhsa_accum_offset 16
		.amdhsa_reserve_vcc 1
		.amdhsa_float_round_mode_32 0
		.amdhsa_float_round_mode_16_64 0
		.amdhsa_float_denorm_mode_32 3
		.amdhsa_float_denorm_mode_16_64 3
		.amdhsa_dx10_clamp 1
		.amdhsa_ieee_mode 1
		.amdhsa_fp16_overflow 0
		.amdhsa_tg_split 0
		.amdhsa_exception_fp_ieee_invalid_op 0
		.amdhsa_exception_fp_denorm_src 0
		.amdhsa_exception_fp_ieee_div_zero 0
		.amdhsa_exception_fp_ieee_overflow 0
		.amdhsa_exception_fp_ieee_underflow 0
		.amdhsa_exception_fp_ieee_inexact 0
		.amdhsa_exception_int_div_zero 0
	.end_amdhsa_kernel
	.section	.text._Z6kernelI10flag_headsiLj256ELj8ELb0ELj100EEvPKT0_PS1_,"axG",@progbits,_Z6kernelI10flag_headsiLj256ELj8ELb0ELj100EEvPKT0_PS1_,comdat
.Lfunc_end4:
	.size	_Z6kernelI10flag_headsiLj256ELj8ELb0ELj100EEvPKT0_PS1_, .Lfunc_end4-_Z6kernelI10flag_headsiLj256ELj8ELb0ELj100EEvPKT0_PS1_
                                        ; -- End function
	.section	.AMDGPU.csdata,"",@progbits
; Kernel info:
; codeLenInByte = 448
; NumSgprs: 25
; NumVgprs: 14
; NumAgprs: 0
; TotalNumVgprs: 14
; ScratchSize: 0
; MemoryBound: 0
; FloatMode: 240
; IeeeMode: 1
; LDSByteSize: 2048 bytes/workgroup (compile time only)
; SGPRBlocks: 3
; VGPRBlocks: 1
; NumSGPRsForWavesPerEU: 25
; NumVGPRsForWavesPerEU: 14
; AccumOffset: 16
; Occupancy: 8
; WaveLimiterHint : 1
; COMPUTE_PGM_RSRC2:SCRATCH_EN: 0
; COMPUTE_PGM_RSRC2:USER_SGPR: 2
; COMPUTE_PGM_RSRC2:TRAP_HANDLER: 0
; COMPUTE_PGM_RSRC2:TGID_X_EN: 1
; COMPUTE_PGM_RSRC2:TGID_Y_EN: 0
; COMPUTE_PGM_RSRC2:TGID_Z_EN: 0
; COMPUTE_PGM_RSRC2:TIDIG_COMP_CNT: 0
; COMPUTE_PGM_RSRC3_GFX90A:ACCUM_OFFSET: 3
; COMPUTE_PGM_RSRC3_GFX90A:TG_SPLIT: 0
	.section	.text._Z6kernelI10flag_headsiLj256ELj1ELb1ELj100EEvPKT0_PS1_,"axG",@progbits,_Z6kernelI10flag_headsiLj256ELj1ELb1ELj100EEvPKT0_PS1_,comdat
	.protected	_Z6kernelI10flag_headsiLj256ELj1ELb1ELj100EEvPKT0_PS1_ ; -- Begin function _Z6kernelI10flag_headsiLj256ELj1ELb1ELj100EEvPKT0_PS1_
	.globl	_Z6kernelI10flag_headsiLj256ELj1ELb1ELj100EEvPKT0_PS1_
	.p2align	8
	.type	_Z6kernelI10flag_headsiLj256ELj1ELb1ELj100EEvPKT0_PS1_,@function
_Z6kernelI10flag_headsiLj256ELj1ELb1ELj100EEvPKT0_PS1_: ; @_Z6kernelI10flag_headsiLj256ELj1ELb1ELj100EEvPKT0_PS1_
; %bb.0:
	s_load_dwordx4 s[4:7], s[0:1], 0x0
	s_lshl_b32 s0, s2, 8
	s_mov_b32 s1, 0
	s_lshl_b64 s[2:3], s[0:1], 2
	v_lshlrev_b32_e32 v2, 2, v0
	s_waitcnt lgkmcnt(0)
	s_add_u32 s0, s4, s2
	s_addc_u32 s1, s5, s3
	global_load_dword v1, v2, s[0:1]
	v_cmp_ne_u32_e32 vcc, 0, v0
	v_add_u32_e32 v3, -4, v2
	s_movk_i32 s4, 0x64
	s_branch .LBB5_2
.LBB5_1:                                ;   in Loop: Header=BB5_2 Depth=1
	s_or_b64 exec, exec, s[0:1]
	s_waitcnt lgkmcnt(0)
	v_cmp_eq_u32_e64 s[0:1], v4, v1
	s_add_i32 s4, s4, -1
	s_cmp_lg_u32 s4, 0
	v_addc_co_u32_e64 v1, s[0:1], 0, v1, s[0:1]
	s_barrier
	s_cbranch_scc0 .LBB5_4
.LBB5_2:                                ; =>This Inner Loop Header: Depth=1
	v_mov_b32_e32 v4, 0x7b
	s_waitcnt vmcnt(0)
	ds_write_b32 v2, v1
	s_waitcnt lgkmcnt(0)
	s_barrier
	s_and_saveexec_b64 s[0:1], vcc
	s_cbranch_execz .LBB5_1
; %bb.3:                                ;   in Loop: Header=BB5_2 Depth=1
	ds_read_b32 v4, v3
	s_branch .LBB5_1
.LBB5_4:
	s_add_u32 s0, s6, s2
	s_addc_u32 s1, s7, s3
	v_lshlrev_b32_e32 v0, 2, v0
	global_store_dword v0, v1, s[0:1]
	s_endpgm
	.section	.rodata,"a",@progbits
	.p2align	6, 0x0
	.amdhsa_kernel _Z6kernelI10flag_headsiLj256ELj1ELb1ELj100EEvPKT0_PS1_
		.amdhsa_group_segment_fixed_size 2048
		.amdhsa_private_segment_fixed_size 0
		.amdhsa_kernarg_size 16
		.amdhsa_user_sgpr_count 2
		.amdhsa_user_sgpr_dispatch_ptr 0
		.amdhsa_user_sgpr_queue_ptr 0
		.amdhsa_user_sgpr_kernarg_segment_ptr 1
		.amdhsa_user_sgpr_dispatch_id 0
		.amdhsa_user_sgpr_kernarg_preload_length 0
		.amdhsa_user_sgpr_kernarg_preload_offset 0
		.amdhsa_user_sgpr_private_segment_size 0
		.amdhsa_uses_dynamic_stack 0
		.amdhsa_enable_private_segment 0
		.amdhsa_system_sgpr_workgroup_id_x 1
		.amdhsa_system_sgpr_workgroup_id_y 0
		.amdhsa_system_sgpr_workgroup_id_z 0
		.amdhsa_system_sgpr_workgroup_info 0
		.amdhsa_system_vgpr_workitem_id 0
		.amdhsa_next_free_vgpr 5
		.amdhsa_next_free_sgpr 8
		.amdhsa_accum_offset 8
		.amdhsa_reserve_vcc 1
		.amdhsa_float_round_mode_32 0
		.amdhsa_float_round_mode_16_64 0
		.amdhsa_float_denorm_mode_32 3
		.amdhsa_float_denorm_mode_16_64 3
		.amdhsa_dx10_clamp 1
		.amdhsa_ieee_mode 1
		.amdhsa_fp16_overflow 0
		.amdhsa_tg_split 0
		.amdhsa_exception_fp_ieee_invalid_op 0
		.amdhsa_exception_fp_denorm_src 0
		.amdhsa_exception_fp_ieee_div_zero 0
		.amdhsa_exception_fp_ieee_overflow 0
		.amdhsa_exception_fp_ieee_underflow 0
		.amdhsa_exception_fp_ieee_inexact 0
		.amdhsa_exception_int_div_zero 0
	.end_amdhsa_kernel
	.section	.text._Z6kernelI10flag_headsiLj256ELj1ELb1ELj100EEvPKT0_PS1_,"axG",@progbits,_Z6kernelI10flag_headsiLj256ELj1ELb1ELj100EEvPKT0_PS1_,comdat
.Lfunc_end5:
	.size	_Z6kernelI10flag_headsiLj256ELj1ELb1ELj100EEvPKT0_PS1_, .Lfunc_end5-_Z6kernelI10flag_headsiLj256ELj1ELb1ELj100EEvPKT0_PS1_
                                        ; -- End function
	.section	.AMDGPU.csdata,"",@progbits
; Kernel info:
; codeLenInByte = 172
; NumSgprs: 14
; NumVgprs: 5
; NumAgprs: 0
; TotalNumVgprs: 5
; ScratchSize: 0
; MemoryBound: 0
; FloatMode: 240
; IeeeMode: 1
; LDSByteSize: 2048 bytes/workgroup (compile time only)
; SGPRBlocks: 1
; VGPRBlocks: 0
; NumSGPRsForWavesPerEU: 14
; NumVGPRsForWavesPerEU: 5
; AccumOffset: 8
; Occupancy: 8
; WaveLimiterHint : 0
; COMPUTE_PGM_RSRC2:SCRATCH_EN: 0
; COMPUTE_PGM_RSRC2:USER_SGPR: 2
; COMPUTE_PGM_RSRC2:TRAP_HANDLER: 0
; COMPUTE_PGM_RSRC2:TGID_X_EN: 1
; COMPUTE_PGM_RSRC2:TGID_Y_EN: 0
; COMPUTE_PGM_RSRC2:TGID_Z_EN: 0
; COMPUTE_PGM_RSRC2:TIDIG_COMP_CNT: 0
; COMPUTE_PGM_RSRC3_GFX90A:ACCUM_OFFSET: 1
; COMPUTE_PGM_RSRC3_GFX90A:TG_SPLIT: 0
	.section	.text._Z6kernelI10flag_headsiLj256ELj2ELb1ELj100EEvPKT0_PS1_,"axG",@progbits,_Z6kernelI10flag_headsiLj256ELj2ELb1ELj100EEvPKT0_PS1_,comdat
	.protected	_Z6kernelI10flag_headsiLj256ELj2ELb1ELj100EEvPKT0_PS1_ ; -- Begin function _Z6kernelI10flag_headsiLj256ELj2ELb1ELj100EEvPKT0_PS1_
	.globl	_Z6kernelI10flag_headsiLj256ELj2ELb1ELj100EEvPKT0_PS1_
	.p2align	8
	.type	_Z6kernelI10flag_headsiLj256ELj2ELb1ELj100EEvPKT0_PS1_,@function
_Z6kernelI10flag_headsiLj256ELj2ELb1ELj100EEvPKT0_PS1_: ; @_Z6kernelI10flag_headsiLj256ELj2ELb1ELj100EEvPKT0_PS1_
; %bb.0:
	s_load_dwordx4 s[4:7], s[0:1], 0x0
	s_lshl_b32 s0, s2, 9
	s_mov_b32 s1, 0
	s_lshl_b64 s[8:9], s[0:1], 2
	v_lshlrev_b32_e32 v3, 2, v0
	s_waitcnt lgkmcnt(0)
	s_add_u32 s0, s4, s8
	s_addc_u32 s1, s5, s9
	global_load_dword v1, v3, s[0:1]
	global_load_dword v2, v3, s[0:1] offset:1024
	v_cmp_ne_u32_e32 vcc, 0, v0
	v_add_u32_e32 v4, -4, v3
	s_movk_i32 s4, 0x64
	s_branch .LBB6_2
.LBB6_1:                                ;   in Loop: Header=BB6_2 Depth=1
	s_or_b64 exec, exec, s[0:1]
	v_cmp_eq_u32_e64 s[0:1], v1, v2
	s_waitcnt lgkmcnt(0)
	v_cmp_eq_u32_e64 s[2:3], v5, v1
	s_add_i32 s4, s4, -1
	v_addc_co_u32_e64 v2, s[0:1], 0, v2, s[0:1]
	v_addc_co_u32_e64 v1, s[2:3], 0, v1, s[2:3]
	s_cmp_lg_u32 s4, 0
	s_barrier
	s_cbranch_scc0 .LBB6_4
.LBB6_2:                                ; =>This Inner Loop Header: Depth=1
	v_mov_b32_e32 v5, 0x7b
	s_waitcnt vmcnt(0)
	ds_write_b32 v3, v2
	s_waitcnt lgkmcnt(0)
	s_barrier
	s_and_saveexec_b64 s[0:1], vcc
	s_cbranch_execz .LBB6_1
; %bb.3:                                ;   in Loop: Header=BB6_2 Depth=1
	ds_read_b32 v5, v4
	s_branch .LBB6_1
.LBB6_4:
	s_add_u32 s0, s6, s8
	s_addc_u32 s1, s7, s9
	v_lshlrev_b32_e32 v0, 2, v0
	global_store_dword v0, v1, s[0:1]
	global_store_dword v0, v2, s[0:1] offset:1024
	s_endpgm
	.section	.rodata,"a",@progbits
	.p2align	6, 0x0
	.amdhsa_kernel _Z6kernelI10flag_headsiLj256ELj2ELb1ELj100EEvPKT0_PS1_
		.amdhsa_group_segment_fixed_size 2048
		.amdhsa_private_segment_fixed_size 0
		.amdhsa_kernarg_size 16
		.amdhsa_user_sgpr_count 2
		.amdhsa_user_sgpr_dispatch_ptr 0
		.amdhsa_user_sgpr_queue_ptr 0
		.amdhsa_user_sgpr_kernarg_segment_ptr 1
		.amdhsa_user_sgpr_dispatch_id 0
		.amdhsa_user_sgpr_kernarg_preload_length 0
		.amdhsa_user_sgpr_kernarg_preload_offset 0
		.amdhsa_user_sgpr_private_segment_size 0
		.amdhsa_uses_dynamic_stack 0
		.amdhsa_enable_private_segment 0
		.amdhsa_system_sgpr_workgroup_id_x 1
		.amdhsa_system_sgpr_workgroup_id_y 0
		.amdhsa_system_sgpr_workgroup_id_z 0
		.amdhsa_system_sgpr_workgroup_info 0
		.amdhsa_system_vgpr_workitem_id 0
		.amdhsa_next_free_vgpr 6
		.amdhsa_next_free_sgpr 10
		.amdhsa_accum_offset 8
		.amdhsa_reserve_vcc 1
		.amdhsa_float_round_mode_32 0
		.amdhsa_float_round_mode_16_64 0
		.amdhsa_float_denorm_mode_32 3
		.amdhsa_float_denorm_mode_16_64 3
		.amdhsa_dx10_clamp 1
		.amdhsa_ieee_mode 1
		.amdhsa_fp16_overflow 0
		.amdhsa_tg_split 0
		.amdhsa_exception_fp_ieee_invalid_op 0
		.amdhsa_exception_fp_denorm_src 0
		.amdhsa_exception_fp_ieee_div_zero 0
		.amdhsa_exception_fp_ieee_overflow 0
		.amdhsa_exception_fp_ieee_underflow 0
		.amdhsa_exception_fp_ieee_inexact 0
		.amdhsa_exception_int_div_zero 0
	.end_amdhsa_kernel
	.section	.text._Z6kernelI10flag_headsiLj256ELj2ELb1ELj100EEvPKT0_PS1_,"axG",@progbits,_Z6kernelI10flag_headsiLj256ELj2ELb1ELj100EEvPKT0_PS1_,comdat
.Lfunc_end6:
	.size	_Z6kernelI10flag_headsiLj256ELj2ELb1ELj100EEvPKT0_PS1_, .Lfunc_end6-_Z6kernelI10flag_headsiLj256ELj2ELb1ELj100EEvPKT0_PS1_
                                        ; -- End function
	.section	.AMDGPU.csdata,"",@progbits
; Kernel info:
; codeLenInByte = 204
; NumSgprs: 16
; NumVgprs: 6
; NumAgprs: 0
; TotalNumVgprs: 6
; ScratchSize: 0
; MemoryBound: 0
; FloatMode: 240
; IeeeMode: 1
; LDSByteSize: 2048 bytes/workgroup (compile time only)
; SGPRBlocks: 1
; VGPRBlocks: 0
; NumSGPRsForWavesPerEU: 16
; NumVGPRsForWavesPerEU: 6
; AccumOffset: 8
; Occupancy: 8
; WaveLimiterHint : 1
; COMPUTE_PGM_RSRC2:SCRATCH_EN: 0
; COMPUTE_PGM_RSRC2:USER_SGPR: 2
; COMPUTE_PGM_RSRC2:TRAP_HANDLER: 0
; COMPUTE_PGM_RSRC2:TGID_X_EN: 1
; COMPUTE_PGM_RSRC2:TGID_Y_EN: 0
; COMPUTE_PGM_RSRC2:TGID_Z_EN: 0
; COMPUTE_PGM_RSRC2:TIDIG_COMP_CNT: 0
; COMPUTE_PGM_RSRC3_GFX90A:ACCUM_OFFSET: 1
; COMPUTE_PGM_RSRC3_GFX90A:TG_SPLIT: 0
	.section	.text._Z6kernelI10flag_headsiLj256ELj3ELb1ELj100EEvPKT0_PS1_,"axG",@progbits,_Z6kernelI10flag_headsiLj256ELj3ELb1ELj100EEvPKT0_PS1_,comdat
	.protected	_Z6kernelI10flag_headsiLj256ELj3ELb1ELj100EEvPKT0_PS1_ ; -- Begin function _Z6kernelI10flag_headsiLj256ELj3ELb1ELj100EEvPKT0_PS1_
	.globl	_Z6kernelI10flag_headsiLj256ELj3ELb1ELj100EEvPKT0_PS1_
	.p2align	8
	.type	_Z6kernelI10flag_headsiLj256ELj3ELb1ELj100EEvPKT0_PS1_,@function
_Z6kernelI10flag_headsiLj256ELj3ELb1ELj100EEvPKT0_PS1_: ; @_Z6kernelI10flag_headsiLj256ELj3ELb1ELj100EEvPKT0_PS1_
; %bb.0:
	s_load_dwordx4 s[4:7], s[0:1], 0x0
	s_mul_i32 s0, s2, 0x300
	s_mov_b32 s1, 0
	s_lshl_b64 s[8:9], s[0:1], 2
	v_lshlrev_b32_e32 v4, 2, v0
	s_waitcnt lgkmcnt(0)
	s_add_u32 s0, s4, s8
	s_addc_u32 s1, s5, s9
	global_load_dword v1, v4, s[0:1]
	global_load_dword v2, v4, s[0:1] offset:1024
	global_load_dword v3, v4, s[0:1] offset:2048
	v_cmp_ne_u32_e32 vcc, 0, v0
	v_add_u32_e32 v5, -4, v4
	s_movk_i32 s10, 0x64
	s_branch .LBB7_2
.LBB7_1:                                ;   in Loop: Header=BB7_2 Depth=1
	s_or_b64 exec, exec, s[0:1]
	v_cmp_eq_u32_e64 s[0:1], v2, v3
	v_cmp_eq_u32_e64 s[2:3], v1, v2
	s_waitcnt lgkmcnt(0)
	v_cmp_eq_u32_e64 s[4:5], v6, v1
	s_add_i32 s10, s10, -1
	v_addc_co_u32_e64 v2, s[2:3], 0, v2, s[2:3]
	v_addc_co_u32_e64 v1, s[4:5], 0, v1, s[4:5]
	;; [unrolled: 1-line block ×3, first 2 shown]
	s_cmp_lg_u32 s10, 0
	s_barrier
	s_cbranch_scc0 .LBB7_4
.LBB7_2:                                ; =>This Inner Loop Header: Depth=1
	v_mov_b32_e32 v6, 0x7b
	s_waitcnt vmcnt(0)
	ds_write_b32 v4, v3
	s_waitcnt lgkmcnt(0)
	s_barrier
	s_and_saveexec_b64 s[0:1], vcc
	s_cbranch_execz .LBB7_1
; %bb.3:                                ;   in Loop: Header=BB7_2 Depth=1
	ds_read_b32 v6, v5
	s_branch .LBB7_1
.LBB7_4:
	s_add_u32 s0, s6, s8
	s_addc_u32 s1, s7, s9
	v_lshlrev_b32_e32 v0, 2, v0
	global_store_dword v0, v1, s[0:1]
	global_store_dword v0, v2, s[0:1] offset:1024
	global_store_dword v0, v3, s[0:1] offset:2048
	s_endpgm
	.section	.rodata,"a",@progbits
	.p2align	6, 0x0
	.amdhsa_kernel _Z6kernelI10flag_headsiLj256ELj3ELb1ELj100EEvPKT0_PS1_
		.amdhsa_group_segment_fixed_size 2048
		.amdhsa_private_segment_fixed_size 0
		.amdhsa_kernarg_size 16
		.amdhsa_user_sgpr_count 2
		.amdhsa_user_sgpr_dispatch_ptr 0
		.amdhsa_user_sgpr_queue_ptr 0
		.amdhsa_user_sgpr_kernarg_segment_ptr 1
		.amdhsa_user_sgpr_dispatch_id 0
		.amdhsa_user_sgpr_kernarg_preload_length 0
		.amdhsa_user_sgpr_kernarg_preload_offset 0
		.amdhsa_user_sgpr_private_segment_size 0
		.amdhsa_uses_dynamic_stack 0
		.amdhsa_enable_private_segment 0
		.amdhsa_system_sgpr_workgroup_id_x 1
		.amdhsa_system_sgpr_workgroup_id_y 0
		.amdhsa_system_sgpr_workgroup_id_z 0
		.amdhsa_system_sgpr_workgroup_info 0
		.amdhsa_system_vgpr_workitem_id 0
		.amdhsa_next_free_vgpr 7
		.amdhsa_next_free_sgpr 11
		.amdhsa_accum_offset 8
		.amdhsa_reserve_vcc 1
		.amdhsa_float_round_mode_32 0
		.amdhsa_float_round_mode_16_64 0
		.amdhsa_float_denorm_mode_32 3
		.amdhsa_float_denorm_mode_16_64 3
		.amdhsa_dx10_clamp 1
		.amdhsa_ieee_mode 1
		.amdhsa_fp16_overflow 0
		.amdhsa_tg_split 0
		.amdhsa_exception_fp_ieee_invalid_op 0
		.amdhsa_exception_fp_denorm_src 0
		.amdhsa_exception_fp_ieee_div_zero 0
		.amdhsa_exception_fp_ieee_overflow 0
		.amdhsa_exception_fp_ieee_underflow 0
		.amdhsa_exception_fp_ieee_inexact 0
		.amdhsa_exception_int_div_zero 0
	.end_amdhsa_kernel
	.section	.text._Z6kernelI10flag_headsiLj256ELj3ELb1ELj100EEvPKT0_PS1_,"axG",@progbits,_Z6kernelI10flag_headsiLj256ELj3ELb1ELj100EEvPKT0_PS1_,comdat
.Lfunc_end7:
	.size	_Z6kernelI10flag_headsiLj256ELj3ELb1ELj100EEvPKT0_PS1_, .Lfunc_end7-_Z6kernelI10flag_headsiLj256ELj3ELb1ELj100EEvPKT0_PS1_
                                        ; -- End function
	.section	.AMDGPU.csdata,"",@progbits
; Kernel info:
; codeLenInByte = 240
; NumSgprs: 17
; NumVgprs: 7
; NumAgprs: 0
; TotalNumVgprs: 7
; ScratchSize: 0
; MemoryBound: 0
; FloatMode: 240
; IeeeMode: 1
; LDSByteSize: 2048 bytes/workgroup (compile time only)
; SGPRBlocks: 2
; VGPRBlocks: 0
; NumSGPRsForWavesPerEU: 17
; NumVGPRsForWavesPerEU: 7
; AccumOffset: 8
; Occupancy: 8
; WaveLimiterHint : 1
; COMPUTE_PGM_RSRC2:SCRATCH_EN: 0
; COMPUTE_PGM_RSRC2:USER_SGPR: 2
; COMPUTE_PGM_RSRC2:TRAP_HANDLER: 0
; COMPUTE_PGM_RSRC2:TGID_X_EN: 1
; COMPUTE_PGM_RSRC2:TGID_Y_EN: 0
; COMPUTE_PGM_RSRC2:TGID_Z_EN: 0
; COMPUTE_PGM_RSRC2:TIDIG_COMP_CNT: 0
; COMPUTE_PGM_RSRC3_GFX90A:ACCUM_OFFSET: 1
; COMPUTE_PGM_RSRC3_GFX90A:TG_SPLIT: 0
	.section	.text._Z6kernelI10flag_headsiLj256ELj4ELb1ELj100EEvPKT0_PS1_,"axG",@progbits,_Z6kernelI10flag_headsiLj256ELj4ELb1ELj100EEvPKT0_PS1_,comdat
	.protected	_Z6kernelI10flag_headsiLj256ELj4ELb1ELj100EEvPKT0_PS1_ ; -- Begin function _Z6kernelI10flag_headsiLj256ELj4ELb1ELj100EEvPKT0_PS1_
	.globl	_Z6kernelI10flag_headsiLj256ELj4ELb1ELj100EEvPKT0_PS1_
	.p2align	8
	.type	_Z6kernelI10flag_headsiLj256ELj4ELb1ELj100EEvPKT0_PS1_,@function
_Z6kernelI10flag_headsiLj256ELj4ELb1ELj100EEvPKT0_PS1_: ; @_Z6kernelI10flag_headsiLj256ELj4ELb1ELj100EEvPKT0_PS1_
; %bb.0:
	s_load_dwordx4 s[8:11], s[0:1], 0x0
	s_lshl_b32 s0, s2, 10
	s_mov_b32 s1, 0
	s_lshl_b64 s[12:13], s[0:1], 2
	v_lshlrev_b32_e32 v5, 2, v0
	s_waitcnt lgkmcnt(0)
	s_add_u32 s0, s8, s12
	s_addc_u32 s1, s9, s13
	global_load_dword v1, v5, s[0:1]
	global_load_dword v2, v5, s[0:1] offset:1024
	global_load_dword v3, v5, s[0:1] offset:2048
	;; [unrolled: 1-line block ×3, first 2 shown]
	v_cmp_ne_u32_e32 vcc, 0, v0
	v_add_u32_e32 v6, -4, v5
	s_movk_i32 s8, 0x64
	s_branch .LBB8_2
.LBB8_1:                                ;   in Loop: Header=BB8_2 Depth=1
	s_or_b64 exec, exec, s[0:1]
	v_cmp_eq_u32_e64 s[0:1], v3, v4
	v_cmp_eq_u32_e64 s[2:3], v2, v3
	;; [unrolled: 1-line block ×3, first 2 shown]
	s_waitcnt lgkmcnt(0)
	v_cmp_eq_u32_e64 s[6:7], v7, v1
	s_add_i32 s8, s8, -1
	v_addc_co_u32_e64 v2, s[4:5], 0, v2, s[4:5]
	v_addc_co_u32_e64 v1, s[6:7], 0, v1, s[6:7]
	;; [unrolled: 1-line block ×4, first 2 shown]
	s_cmp_lg_u32 s8, 0
	s_barrier
	s_cbranch_scc0 .LBB8_4
.LBB8_2:                                ; =>This Inner Loop Header: Depth=1
	v_mov_b32_e32 v7, 0x7b
	s_waitcnt vmcnt(0)
	ds_write_b32 v5, v4
	s_waitcnt lgkmcnt(0)
	s_barrier
	s_and_saveexec_b64 s[0:1], vcc
	s_cbranch_execz .LBB8_1
; %bb.3:                                ;   in Loop: Header=BB8_2 Depth=1
	ds_read_b32 v7, v6
	s_branch .LBB8_1
.LBB8_4:
	s_add_u32 s0, s10, s12
	s_addc_u32 s1, s11, s13
	v_lshlrev_b32_e32 v0, 2, v0
	global_store_dword v0, v1, s[0:1]
	global_store_dword v0, v2, s[0:1] offset:1024
	global_store_dword v0, v3, s[0:1] offset:2048
	;; [unrolled: 1-line block ×3, first 2 shown]
	s_endpgm
	.section	.rodata,"a",@progbits
	.p2align	6, 0x0
	.amdhsa_kernel _Z6kernelI10flag_headsiLj256ELj4ELb1ELj100EEvPKT0_PS1_
		.amdhsa_group_segment_fixed_size 2048
		.amdhsa_private_segment_fixed_size 0
		.amdhsa_kernarg_size 16
		.amdhsa_user_sgpr_count 2
		.amdhsa_user_sgpr_dispatch_ptr 0
		.amdhsa_user_sgpr_queue_ptr 0
		.amdhsa_user_sgpr_kernarg_segment_ptr 1
		.amdhsa_user_sgpr_dispatch_id 0
		.amdhsa_user_sgpr_kernarg_preload_length 0
		.amdhsa_user_sgpr_kernarg_preload_offset 0
		.amdhsa_user_sgpr_private_segment_size 0
		.amdhsa_uses_dynamic_stack 0
		.amdhsa_enable_private_segment 0
		.amdhsa_system_sgpr_workgroup_id_x 1
		.amdhsa_system_sgpr_workgroup_id_y 0
		.amdhsa_system_sgpr_workgroup_id_z 0
		.amdhsa_system_sgpr_workgroup_info 0
		.amdhsa_system_vgpr_workitem_id 0
		.amdhsa_next_free_vgpr 8
		.amdhsa_next_free_sgpr 14
		.amdhsa_accum_offset 8
		.amdhsa_reserve_vcc 1
		.amdhsa_float_round_mode_32 0
		.amdhsa_float_round_mode_16_64 0
		.amdhsa_float_denorm_mode_32 3
		.amdhsa_float_denorm_mode_16_64 3
		.amdhsa_dx10_clamp 1
		.amdhsa_ieee_mode 1
		.amdhsa_fp16_overflow 0
		.amdhsa_tg_split 0
		.amdhsa_exception_fp_ieee_invalid_op 0
		.amdhsa_exception_fp_denorm_src 0
		.amdhsa_exception_fp_ieee_div_zero 0
		.amdhsa_exception_fp_ieee_overflow 0
		.amdhsa_exception_fp_ieee_underflow 0
		.amdhsa_exception_fp_ieee_inexact 0
		.amdhsa_exception_int_div_zero 0
	.end_amdhsa_kernel
	.section	.text._Z6kernelI10flag_headsiLj256ELj4ELb1ELj100EEvPKT0_PS1_,"axG",@progbits,_Z6kernelI10flag_headsiLj256ELj4ELb1ELj100EEvPKT0_PS1_,comdat
.Lfunc_end8:
	.size	_Z6kernelI10flag_headsiLj256ELj4ELb1ELj100EEvPKT0_PS1_, .Lfunc_end8-_Z6kernelI10flag_headsiLj256ELj4ELb1ELj100EEvPKT0_PS1_
                                        ; -- End function
	.section	.AMDGPU.csdata,"",@progbits
; Kernel info:
; codeLenInByte = 268
; NumSgprs: 20
; NumVgprs: 8
; NumAgprs: 0
; TotalNumVgprs: 8
; ScratchSize: 0
; MemoryBound: 0
; FloatMode: 240
; IeeeMode: 1
; LDSByteSize: 2048 bytes/workgroup (compile time only)
; SGPRBlocks: 2
; VGPRBlocks: 0
; NumSGPRsForWavesPerEU: 20
; NumVGPRsForWavesPerEU: 8
; AccumOffset: 8
; Occupancy: 8
; WaveLimiterHint : 1
; COMPUTE_PGM_RSRC2:SCRATCH_EN: 0
; COMPUTE_PGM_RSRC2:USER_SGPR: 2
; COMPUTE_PGM_RSRC2:TRAP_HANDLER: 0
; COMPUTE_PGM_RSRC2:TGID_X_EN: 1
; COMPUTE_PGM_RSRC2:TGID_Y_EN: 0
; COMPUTE_PGM_RSRC2:TGID_Z_EN: 0
; COMPUTE_PGM_RSRC2:TIDIG_COMP_CNT: 0
; COMPUTE_PGM_RSRC3_GFX90A:ACCUM_OFFSET: 1
; COMPUTE_PGM_RSRC3_GFX90A:TG_SPLIT: 0
	.section	.text._Z6kernelI10flag_headsiLj256ELj8ELb1ELj100EEvPKT0_PS1_,"axG",@progbits,_Z6kernelI10flag_headsiLj256ELj8ELb1ELj100EEvPKT0_PS1_,comdat
	.protected	_Z6kernelI10flag_headsiLj256ELj8ELb1ELj100EEvPKT0_PS1_ ; -- Begin function _Z6kernelI10flag_headsiLj256ELj8ELb1ELj100EEvPKT0_PS1_
	.globl	_Z6kernelI10flag_headsiLj256ELj8ELb1ELj100EEvPKT0_PS1_
	.p2align	8
	.type	_Z6kernelI10flag_headsiLj256ELj8ELb1ELj100EEvPKT0_PS1_,@function
_Z6kernelI10flag_headsiLj256ELj8ELb1ELj100EEvPKT0_PS1_: ; @_Z6kernelI10flag_headsiLj256ELj8ELb1ELj100EEvPKT0_PS1_
; %bb.0:
	s_load_dwordx4 s[16:19], s[0:1], 0x0
	s_lshl_b32 s0, s2, 11
	s_mov_b32 s1, 0
	s_lshl_b64 s[20:21], s[0:1], 2
	v_mov_b32_e32 v3, 0
	s_waitcnt lgkmcnt(0)
	s_add_u32 s0, s16, s20
	s_addc_u32 s1, s17, s21
	v_lshlrev_b32_e32 v2, 2, v0
	v_lshl_add_u64 v[6:7], s[0:1], 0, v[2:3]
	v_add_co_u32_e32 v10, vcc, 0x1000, v6
	global_load_dword v1, v2, s[0:1] offset:1024
	global_load_dword v3, v2, s[0:1] offset:2048
	;; [unrolled: 1-line block ×3, first 2 shown]
	v_addc_co_u32_e32 v11, vcc, 0, v7, vcc
	global_load_dword v5, v[10:11], off
	global_load_dword v6, v[10:11], off offset:1024
	global_load_dword v7, v[10:11], off offset:2048
	global_load_dword v9, v2, s[0:1]
	global_load_dword v8, v[10:11], off offset:3072
	v_cmp_ne_u32_e32 vcc, 0, v0
	v_add_u32_e32 v10, -4, v2
	s_movk_i32 s16, 0x64
	s_branch .LBB9_2
.LBB9_1:                                ;   in Loop: Header=BB9_2 Depth=1
	s_or_b64 exec, exec, s[0:1]
	v_cmp_eq_u32_e64 s[0:1], v7, v8
	v_cmp_eq_u32_e64 s[2:3], v6, v7
	;; [unrolled: 1-line block ×7, first 2 shown]
	s_waitcnt lgkmcnt(0)
	v_cmp_eq_u32_e64 s[14:15], v11, v9
	s_add_i32 s16, s16, -1
	v_addc_co_u32_e64 v1, s[12:13], 0, v1, s[12:13]
	v_addc_co_u32_e64 v9, s[14:15], 0, v9, s[14:15]
	v_addc_co_u32_e64 v3, s[10:11], 0, v3, s[10:11]
	v_addc_co_u32_e64 v4, s[8:9], 0, v4, s[8:9]
	v_addc_co_u32_e64 v5, s[6:7], 0, v5, s[6:7]
	v_addc_co_u32_e64 v6, s[4:5], 0, v6, s[4:5]
	v_addc_co_u32_e64 v7, s[2:3], 0, v7, s[2:3]
	v_addc_co_u32_e64 v8, s[0:1], 0, v8, s[0:1]
	s_cmp_lg_u32 s16, 0
	s_barrier
	s_cbranch_scc0 .LBB9_4
.LBB9_2:                                ; =>This Inner Loop Header: Depth=1
	v_mov_b32_e32 v11, 0x7b
	s_waitcnt vmcnt(0)
	ds_write_b32 v2, v8
	s_waitcnt lgkmcnt(0)
	s_barrier
	s_and_saveexec_b64 s[0:1], vcc
	s_cbranch_execz .LBB9_1
; %bb.3:                                ;   in Loop: Header=BB9_2 Depth=1
	ds_read_b32 v11, v10
	s_branch .LBB9_1
.LBB9_4:
	s_add_u32 s0, s18, s20
	s_addc_u32 s1, s19, s21
	v_lshlrev_b32_e32 v10, 2, v0
	v_mov_b32_e32 v11, 0
	v_lshl_add_u64 v[12:13], s[0:1], 0, v[10:11]
	v_add_co_u32_e32 v0, vcc, 0x1000, v12
	global_store_dword v10, v9, s[0:1]
	global_store_dword v10, v1, s[0:1] offset:1024
	global_store_dword v10, v3, s[0:1] offset:2048
	;; [unrolled: 1-line block ×3, first 2 shown]
	v_addc_co_u32_e32 v1, vcc, 0, v13, vcc
	global_store_dword v[0:1], v5, off
	global_store_dword v[0:1], v6, off offset:1024
	global_store_dword v[0:1], v7, off offset:2048
	;; [unrolled: 1-line block ×3, first 2 shown]
	s_endpgm
	.section	.rodata,"a",@progbits
	.p2align	6, 0x0
	.amdhsa_kernel _Z6kernelI10flag_headsiLj256ELj8ELb1ELj100EEvPKT0_PS1_
		.amdhsa_group_segment_fixed_size 2048
		.amdhsa_private_segment_fixed_size 0
		.amdhsa_kernarg_size 16
		.amdhsa_user_sgpr_count 2
		.amdhsa_user_sgpr_dispatch_ptr 0
		.amdhsa_user_sgpr_queue_ptr 0
		.amdhsa_user_sgpr_kernarg_segment_ptr 1
		.amdhsa_user_sgpr_dispatch_id 0
		.amdhsa_user_sgpr_kernarg_preload_length 0
		.amdhsa_user_sgpr_kernarg_preload_offset 0
		.amdhsa_user_sgpr_private_segment_size 0
		.amdhsa_uses_dynamic_stack 0
		.amdhsa_enable_private_segment 0
		.amdhsa_system_sgpr_workgroup_id_x 1
		.amdhsa_system_sgpr_workgroup_id_y 0
		.amdhsa_system_sgpr_workgroup_id_z 0
		.amdhsa_system_sgpr_workgroup_info 0
		.amdhsa_system_vgpr_workitem_id 0
		.amdhsa_next_free_vgpr 14
		.amdhsa_next_free_sgpr 22
		.amdhsa_accum_offset 16
		.amdhsa_reserve_vcc 1
		.amdhsa_float_round_mode_32 0
		.amdhsa_float_round_mode_16_64 0
		.amdhsa_float_denorm_mode_32 3
		.amdhsa_float_denorm_mode_16_64 3
		.amdhsa_dx10_clamp 1
		.amdhsa_ieee_mode 1
		.amdhsa_fp16_overflow 0
		.amdhsa_tg_split 0
		.amdhsa_exception_fp_ieee_invalid_op 0
		.amdhsa_exception_fp_denorm_src 0
		.amdhsa_exception_fp_ieee_div_zero 0
		.amdhsa_exception_fp_ieee_overflow 0
		.amdhsa_exception_fp_ieee_underflow 0
		.amdhsa_exception_fp_ieee_inexact 0
		.amdhsa_exception_int_div_zero 0
	.end_amdhsa_kernel
	.section	.text._Z6kernelI10flag_headsiLj256ELj8ELb1ELj100EEvPKT0_PS1_,"axG",@progbits,_Z6kernelI10flag_headsiLj256ELj8ELb1ELj100EEvPKT0_PS1_,comdat
.Lfunc_end9:
	.size	_Z6kernelI10flag_headsiLj256ELj8ELb1ELj100EEvPKT0_PS1_, .Lfunc_end9-_Z6kernelI10flag_headsiLj256ELj8ELb1ELj100EEvPKT0_PS1_
                                        ; -- End function
	.section	.AMDGPU.csdata,"",@progbits
; Kernel info:
; codeLenInByte = 444
; NumSgprs: 28
; NumVgprs: 14
; NumAgprs: 0
; TotalNumVgprs: 14
; ScratchSize: 0
; MemoryBound: 0
; FloatMode: 240
; IeeeMode: 1
; LDSByteSize: 2048 bytes/workgroup (compile time only)
; SGPRBlocks: 3
; VGPRBlocks: 1
; NumSGPRsForWavesPerEU: 28
; NumVGPRsForWavesPerEU: 14
; AccumOffset: 16
; Occupancy: 8
; WaveLimiterHint : 1
; COMPUTE_PGM_RSRC2:SCRATCH_EN: 0
; COMPUTE_PGM_RSRC2:USER_SGPR: 2
; COMPUTE_PGM_RSRC2:TRAP_HANDLER: 0
; COMPUTE_PGM_RSRC2:TGID_X_EN: 1
; COMPUTE_PGM_RSRC2:TGID_Y_EN: 0
; COMPUTE_PGM_RSRC2:TGID_Z_EN: 0
; COMPUTE_PGM_RSRC2:TIDIG_COMP_CNT: 0
; COMPUTE_PGM_RSRC3_GFX90A:ACCUM_OFFSET: 3
; COMPUTE_PGM_RSRC3_GFX90A:TG_SPLIT: 0
	.section	.text._Z6kernelI10flag_headsaLj256ELj1ELb0ELj100EEvPKT0_PS1_,"axG",@progbits,_Z6kernelI10flag_headsaLj256ELj1ELb0ELj100EEvPKT0_PS1_,comdat
	.protected	_Z6kernelI10flag_headsaLj256ELj1ELb0ELj100EEvPKT0_PS1_ ; -- Begin function _Z6kernelI10flag_headsaLj256ELj1ELb0ELj100EEvPKT0_PS1_
	.globl	_Z6kernelI10flag_headsaLj256ELj1ELb0ELj100EEvPKT0_PS1_
	.p2align	8
	.type	_Z6kernelI10flag_headsaLj256ELj1ELb0ELj100EEvPKT0_PS1_,@function
_Z6kernelI10flag_headsaLj256ELj1ELb0ELj100EEvPKT0_PS1_: ; @_Z6kernelI10flag_headsaLj256ELj1ELb0ELj100EEvPKT0_PS1_
; %bb.0:
	s_load_dwordx4 s[4:7], s[0:1], 0x0
	s_lshl_b32 s2, s2, 8
	v_mov_b32_e32 v1, 0
	v_cmp_ne_u32_e32 vcc, 0, v0
	v_add_u32_e32 v3, -1, v0
	s_waitcnt lgkmcnt(0)
	s_add_u32 s0, s4, s2
	s_addc_u32 s1, s5, 0
	global_load_ubyte v2, v0, s[0:1]
	s_movk_i32 s3, 0x64
	s_branch .LBB10_2
.LBB10_1:                               ;   in Loop: Header=BB10_2 Depth=1
	s_or_b64 exec, exec, s[0:1]
	s_add_i32 s3, s3, -1
	v_add_u16_e32 v2, v4, v2
	s_cmp_lg_u32 s3, 0
	s_barrier
	s_cbranch_scc0 .LBB10_4
.LBB10_2:                               ; =>This Inner Loop Header: Depth=1
	v_mov_b32_e32 v4, 1
	s_waitcnt vmcnt(0)
	ds_write_b8 v0, v2
	s_waitcnt lgkmcnt(0)
	s_barrier
	s_and_saveexec_b64 s[0:1], vcc
	s_cbranch_execz .LBB10_1
; %bb.3:                                ;   in Loop: Header=BB10_2 Depth=1
	ds_read_u8 v4, v3
	s_waitcnt lgkmcnt(0)
	v_cmp_eq_u16_sdwa s[4:5], v4, v2 src0_sel:DWORD src1_sel:BYTE_0
	s_nop 1
	v_cndmask_b32_e64 v4, 0, 1, s[4:5]
	s_branch .LBB10_1
.LBB10_4:
	s_add_u32 s0, s6, s2
	s_addc_u32 s1, s7, 0
	v_lshl_add_u64 v[0:1], s[0:1], 0, v[0:1]
	global_store_byte v[0:1], v2, off
	s_endpgm
	.section	.rodata,"a",@progbits
	.p2align	6, 0x0
	.amdhsa_kernel _Z6kernelI10flag_headsaLj256ELj1ELb0ELj100EEvPKT0_PS1_
		.amdhsa_group_segment_fixed_size 512
		.amdhsa_private_segment_fixed_size 0
		.amdhsa_kernarg_size 16
		.amdhsa_user_sgpr_count 2
		.amdhsa_user_sgpr_dispatch_ptr 0
		.amdhsa_user_sgpr_queue_ptr 0
		.amdhsa_user_sgpr_kernarg_segment_ptr 1
		.amdhsa_user_sgpr_dispatch_id 0
		.amdhsa_user_sgpr_kernarg_preload_length 0
		.amdhsa_user_sgpr_kernarg_preload_offset 0
		.amdhsa_user_sgpr_private_segment_size 0
		.amdhsa_uses_dynamic_stack 0
		.amdhsa_enable_private_segment 0
		.amdhsa_system_sgpr_workgroup_id_x 1
		.amdhsa_system_sgpr_workgroup_id_y 0
		.amdhsa_system_sgpr_workgroup_id_z 0
		.amdhsa_system_sgpr_workgroup_info 0
		.amdhsa_system_vgpr_workitem_id 0
		.amdhsa_next_free_vgpr 5
		.amdhsa_next_free_sgpr 8
		.amdhsa_accum_offset 8
		.amdhsa_reserve_vcc 1
		.amdhsa_float_round_mode_32 0
		.amdhsa_float_round_mode_16_64 0
		.amdhsa_float_denorm_mode_32 3
		.amdhsa_float_denorm_mode_16_64 3
		.amdhsa_dx10_clamp 1
		.amdhsa_ieee_mode 1
		.amdhsa_fp16_overflow 0
		.amdhsa_tg_split 0
		.amdhsa_exception_fp_ieee_invalid_op 0
		.amdhsa_exception_fp_denorm_src 0
		.amdhsa_exception_fp_ieee_div_zero 0
		.amdhsa_exception_fp_ieee_overflow 0
		.amdhsa_exception_fp_ieee_underflow 0
		.amdhsa_exception_fp_ieee_inexact 0
		.amdhsa_exception_int_div_zero 0
	.end_amdhsa_kernel
	.section	.text._Z6kernelI10flag_headsaLj256ELj1ELb0ELj100EEvPKT0_PS1_,"axG",@progbits,_Z6kernelI10flag_headsaLj256ELj1ELb0ELj100EEvPKT0_PS1_,comdat
.Lfunc_end10:
	.size	_Z6kernelI10flag_headsaLj256ELj1ELb0ELj100EEvPKT0_PS1_, .Lfunc_end10-_Z6kernelI10flag_headsaLj256ELj1ELb0ELj100EEvPKT0_PS1_
                                        ; -- End function
	.section	.AMDGPU.csdata,"",@progbits
; Kernel info:
; codeLenInByte = 172
; NumSgprs: 14
; NumVgprs: 5
; NumAgprs: 0
; TotalNumVgprs: 5
; ScratchSize: 0
; MemoryBound: 0
; FloatMode: 240
; IeeeMode: 1
; LDSByteSize: 512 bytes/workgroup (compile time only)
; SGPRBlocks: 1
; VGPRBlocks: 0
; NumSGPRsForWavesPerEU: 14
; NumVGPRsForWavesPerEU: 5
; AccumOffset: 8
; Occupancy: 8
; WaveLimiterHint : 0
; COMPUTE_PGM_RSRC2:SCRATCH_EN: 0
; COMPUTE_PGM_RSRC2:USER_SGPR: 2
; COMPUTE_PGM_RSRC2:TRAP_HANDLER: 0
; COMPUTE_PGM_RSRC2:TGID_X_EN: 1
; COMPUTE_PGM_RSRC2:TGID_Y_EN: 0
; COMPUTE_PGM_RSRC2:TGID_Z_EN: 0
; COMPUTE_PGM_RSRC2:TIDIG_COMP_CNT: 0
; COMPUTE_PGM_RSRC3_GFX90A:ACCUM_OFFSET: 1
; COMPUTE_PGM_RSRC3_GFX90A:TG_SPLIT: 0
	.section	.text._Z6kernelI10flag_headsaLj256ELj2ELb0ELj100EEvPKT0_PS1_,"axG",@progbits,_Z6kernelI10flag_headsaLj256ELj2ELb0ELj100EEvPKT0_PS1_,comdat
	.protected	_Z6kernelI10flag_headsaLj256ELj2ELb0ELj100EEvPKT0_PS1_ ; -- Begin function _Z6kernelI10flag_headsaLj256ELj2ELb0ELj100EEvPKT0_PS1_
	.globl	_Z6kernelI10flag_headsaLj256ELj2ELb0ELj100EEvPKT0_PS1_
	.p2align	8
	.type	_Z6kernelI10flag_headsaLj256ELj2ELb0ELj100EEvPKT0_PS1_,@function
_Z6kernelI10flag_headsaLj256ELj2ELb0ELj100EEvPKT0_PS1_: ; @_Z6kernelI10flag_headsaLj256ELj2ELb0ELj100EEvPKT0_PS1_
; %bb.0:
	s_load_dwordx4 s[4:7], s[0:1], 0x0
	s_lshl_b32 s2, s2, 9
	v_mov_b32_e32 v1, 0
	v_cmp_ne_u32_e32 vcc, 0, v0
	v_add_u32_e32 v2, -1, v0
	s_waitcnt lgkmcnt(0)
	s_add_u32 s0, s4, s2
	s_addc_u32 s1, s5, 0
	global_load_ubyte v3, v0, s[0:1] offset:256
	global_load_ubyte v4, v0, s[0:1]
	s_movk_i32 s3, 0x64
	s_waitcnt vmcnt(1)
	v_lshlrev_b16_e32 v3, 8, v3
	s_waitcnt vmcnt(0)
	v_or_b32_e32 v3, v4, v3
	v_and_b32_e32 v3, 0xffff, v3
	s_branch .LBB11_2
.LBB11_1:                               ;   in Loop: Header=BB11_2 Depth=1
	s_or_b64 exec, exec, s[0:1]
	v_add_u16_sdwa v4, v6, v4 dst_sel:DWORD dst_unused:UNUSED_PAD src0_sel:BYTE_1 src1_sel:DWORD
	v_add_u16_e32 v5, v6, v3
	v_lshlrev_b16_e32 v3, 8, v4
	v_or_b32_sdwa v3, v5, v3 dst_sel:DWORD dst_unused:UNUSED_PAD src0_sel:BYTE_0 src1_sel:DWORD
	s_add_i32 s3, s3, -1
	v_and_b32_e32 v3, 0xffff, v3
	s_cmp_lg_u32 s3, 0
	s_barrier
	s_cbranch_scc0 .LBB11_4
.LBB11_2:                               ; =>This Inner Loop Header: Depth=1
	v_lshrrev_b16_e32 v4, 8, v3
	v_cmp_eq_u16_sdwa s[0:1], v3, v4 src0_sel:BYTE_0 src1_sel:DWORD
	ds_write_b8 v0, v4
	s_waitcnt lgkmcnt(0)
	v_cndmask_b32_e64 v5, 0, 1, s[0:1]
	v_lshlrev_b16_e32 v5, 8, v5
	v_or_b32_e32 v5, 1, v5
	v_and_b32_e32 v6, 0xffff, v5
	s_barrier
	s_and_saveexec_b64 s[0:1], vcc
	s_cbranch_execz .LBB11_1
; %bb.3:                                ;   in Loop: Header=BB11_2 Depth=1
	ds_read_u8 v5, v2
	v_and_b32_e32 v6, 0x100, v6
	s_waitcnt lgkmcnt(0)
	v_cmp_eq_u16_sdwa s[4:5], v5, v3 src0_sel:DWORD src1_sel:BYTE_0
	s_nop 1
	v_cndmask_b32_e64 v5, 0, 1, s[4:5]
	v_or_b32_e32 v5, v5, v6
	v_and_b32_e32 v6, 0xffff, v5
	s_branch .LBB11_1
.LBB11_4:
	s_add_u32 s0, s6, s2
	s_addc_u32 s1, s7, 0
	v_lshl_add_u64 v[0:1], s[0:1], 0, v[0:1]
	global_store_byte v[0:1], v5, off
	global_store_byte v[0:1], v4, off offset:256
	s_endpgm
	.section	.rodata,"a",@progbits
	.p2align	6, 0x0
	.amdhsa_kernel _Z6kernelI10flag_headsaLj256ELj2ELb0ELj100EEvPKT0_PS1_
		.amdhsa_group_segment_fixed_size 512
		.amdhsa_private_segment_fixed_size 0
		.amdhsa_kernarg_size 16
		.amdhsa_user_sgpr_count 2
		.amdhsa_user_sgpr_dispatch_ptr 0
		.amdhsa_user_sgpr_queue_ptr 0
		.amdhsa_user_sgpr_kernarg_segment_ptr 1
		.amdhsa_user_sgpr_dispatch_id 0
		.amdhsa_user_sgpr_kernarg_preload_length 0
		.amdhsa_user_sgpr_kernarg_preload_offset 0
		.amdhsa_user_sgpr_private_segment_size 0
		.amdhsa_uses_dynamic_stack 0
		.amdhsa_enable_private_segment 0
		.amdhsa_system_sgpr_workgroup_id_x 1
		.amdhsa_system_sgpr_workgroup_id_y 0
		.amdhsa_system_sgpr_workgroup_id_z 0
		.amdhsa_system_sgpr_workgroup_info 0
		.amdhsa_system_vgpr_workitem_id 0
		.amdhsa_next_free_vgpr 7
		.amdhsa_next_free_sgpr 8
		.amdhsa_accum_offset 8
		.amdhsa_reserve_vcc 1
		.amdhsa_float_round_mode_32 0
		.amdhsa_float_round_mode_16_64 0
		.amdhsa_float_denorm_mode_32 3
		.amdhsa_float_denorm_mode_16_64 3
		.amdhsa_dx10_clamp 1
		.amdhsa_ieee_mode 1
		.amdhsa_fp16_overflow 0
		.amdhsa_tg_split 0
		.amdhsa_exception_fp_ieee_invalid_op 0
		.amdhsa_exception_fp_denorm_src 0
		.amdhsa_exception_fp_ieee_div_zero 0
		.amdhsa_exception_fp_ieee_overflow 0
		.amdhsa_exception_fp_ieee_underflow 0
		.amdhsa_exception_fp_ieee_inexact 0
		.amdhsa_exception_int_div_zero 0
	.end_amdhsa_kernel
	.section	.text._Z6kernelI10flag_headsaLj256ELj2ELb0ELj100EEvPKT0_PS1_,"axG",@progbits,_Z6kernelI10flag_headsaLj256ELj2ELb0ELj100EEvPKT0_PS1_,comdat
.Lfunc_end11:
	.size	_Z6kernelI10flag_headsaLj256ELj2ELb0ELj100EEvPKT0_PS1_, .Lfunc_end11-_Z6kernelI10flag_headsaLj256ELj2ELb0ELj100EEvPKT0_PS1_
                                        ; -- End function
	.section	.AMDGPU.csdata,"",@progbits
; Kernel info:
; codeLenInByte = 288
; NumSgprs: 14
; NumVgprs: 7
; NumAgprs: 0
; TotalNumVgprs: 7
; ScratchSize: 0
; MemoryBound: 0
; FloatMode: 240
; IeeeMode: 1
; LDSByteSize: 512 bytes/workgroup (compile time only)
; SGPRBlocks: 1
; VGPRBlocks: 0
; NumSGPRsForWavesPerEU: 14
; NumVGPRsForWavesPerEU: 7
; AccumOffset: 8
; Occupancy: 8
; WaveLimiterHint : 1
; COMPUTE_PGM_RSRC2:SCRATCH_EN: 0
; COMPUTE_PGM_RSRC2:USER_SGPR: 2
; COMPUTE_PGM_RSRC2:TRAP_HANDLER: 0
; COMPUTE_PGM_RSRC2:TGID_X_EN: 1
; COMPUTE_PGM_RSRC2:TGID_Y_EN: 0
; COMPUTE_PGM_RSRC2:TGID_Z_EN: 0
; COMPUTE_PGM_RSRC2:TIDIG_COMP_CNT: 0
; COMPUTE_PGM_RSRC3_GFX90A:ACCUM_OFFSET: 1
; COMPUTE_PGM_RSRC3_GFX90A:TG_SPLIT: 0
	.section	.text._Z6kernelI10flag_headsaLj256ELj3ELb0ELj100EEvPKT0_PS1_,"axG",@progbits,_Z6kernelI10flag_headsaLj256ELj3ELb0ELj100EEvPKT0_PS1_,comdat
	.protected	_Z6kernelI10flag_headsaLj256ELj3ELb0ELj100EEvPKT0_PS1_ ; -- Begin function _Z6kernelI10flag_headsaLj256ELj3ELb0ELj100EEvPKT0_PS1_
	.globl	_Z6kernelI10flag_headsaLj256ELj3ELb0ELj100EEvPKT0_PS1_
	.p2align	8
	.type	_Z6kernelI10flag_headsaLj256ELj3ELb0ELj100EEvPKT0_PS1_,@function
_Z6kernelI10flag_headsaLj256ELj3ELb0ELj100EEvPKT0_PS1_: ; @_Z6kernelI10flag_headsaLj256ELj3ELb0ELj100EEvPKT0_PS1_
; %bb.0:
	s_load_dwordx4 s[4:7], s[0:1], 0x0
	s_mulk_i32 s2, 0x300
	v_mov_b32_e32 v1, 0
	s_movk_i32 s3, 0x64
	v_cmp_ne_u32_e32 vcc, 0, v0
	s_waitcnt lgkmcnt(0)
	s_add_u32 s0, s4, s2
	s_addc_u32 s1, s5, 0
	global_load_ubyte v3, v0, s[0:1] offset:256
	global_load_ubyte v4, v0, s[0:1]
	global_load_ubyte v5, v0, s[0:1] offset:512
	s_mov_b32 s4, 0x10000
	v_add_u32_e32 v2, -1, v0
	s_waitcnt vmcnt(2)
	v_lshlrev_b16_e32 v3, 8, v3
	s_waitcnt vmcnt(1)
	v_or_b32_e32 v3, v4, v3
	v_and_b32_e32 v3, 0xffff, v3
	s_waitcnt vmcnt(0)
	v_lshl_or_b32 v4, v5, 16, v3
	v_mov_b32_e32 v3, 8
	s_branch .LBB12_2
.LBB12_1:                               ;   in Loop: Header=BB12_2 Depth=1
	s_or_b64 exec, exec, s[0:1]
	v_add_u16_e32 v7, v8, v4
	v_lshrrev_b32_e32 v4, 8, v8
	v_add_u16_e32 v6, v4, v6
	v_add_u16_sdwa v5, v8, v5 dst_sel:DWORD dst_unused:UNUSED_PAD src0_sel:WORD_1 src1_sel:DWORD
	v_lshlrev_b16_e32 v4, 8, v6
	v_and_b32_e32 v8, 0xff, v5
	v_or_b32_sdwa v4, v7, v4 dst_sel:DWORD dst_unused:UNUSED_PAD src0_sel:BYTE_0 src1_sel:DWORD
	v_lshlrev_b32_e32 v8, 16, v8
	s_add_i32 s3, s3, -1
	v_or_b32_sdwa v4, v4, v8 dst_sel:DWORD dst_unused:UNUSED_PAD src0_sel:WORD_0 src1_sel:DWORD
	s_cmp_lg_u32 s3, 0
	s_barrier
	s_cbranch_scc0 .LBB12_4
.LBB12_2:                               ; =>This Inner Loop Header: Depth=1
	v_lshrrev_b32_e32 v6, 8, v4
	v_cmp_eq_u16_sdwa s[0:1], v4, v6 src0_sel:BYTE_0 src1_sel:BYTE_0
	v_lshrrev_b32_e32 v5, 16, v4
	ds_write_b8 v0, v5
	v_cndmask_b32_e64 v7, 0, 1, s[0:1]
	v_lshlrev_b16_e32 v7, 8, v7
	v_or_b32_e32 v7, 1, v7
	v_cmp_eq_u16_sdwa s[0:1], v6, v5 src0_sel:BYTE_0 src1_sel:BYTE_0
	v_and_b32_e32 v7, 0xffff, v7
	s_waitcnt lgkmcnt(0)
	v_cndmask_b32_e64 v8, 0, 1, s[0:1]
	v_lshl_or_b32 v8, v8, 16, v7
	s_barrier
	s_and_saveexec_b64 s[0:1], vcc
	s_cbranch_execz .LBB12_1
; %bb.3:                                ;   in Loop: Header=BB12_2 Depth=1
	ds_read_u8 v7, v2
	v_lshrrev_b32_sdwa v9, v3, v8 dst_sel:BYTE_1 dst_unused:UNUSED_PAD src0_sel:DWORD src1_sel:DWORD
	s_waitcnt lgkmcnt(0)
	v_cmp_eq_u16_sdwa s[8:9], v7, v4 src0_sel:DWORD src1_sel:BYTE_0
	s_nop 1
	v_cndmask_b32_e64 v7, 0, 1, s[8:9]
	v_or_b32_e32 v7, v7, v9
	v_and_b32_e32 v7, 0xffff, v7
	v_and_or_b32 v8, v8, s4, v7
	s_branch .LBB12_1
.LBB12_4:
	s_add_u32 s0, s6, s2
	s_addc_u32 s1, s7, 0
	v_lshl_add_u64 v[0:1], s[0:1], 0, v[0:1]
	global_store_byte v[0:1], v7, off
	global_store_byte v[0:1], v6, off offset:256
	global_store_byte v[0:1], v5, off offset:512
	s_endpgm
	.section	.rodata,"a",@progbits
	.p2align	6, 0x0
	.amdhsa_kernel _Z6kernelI10flag_headsaLj256ELj3ELb0ELj100EEvPKT0_PS1_
		.amdhsa_group_segment_fixed_size 512
		.amdhsa_private_segment_fixed_size 0
		.amdhsa_kernarg_size 16
		.amdhsa_user_sgpr_count 2
		.amdhsa_user_sgpr_dispatch_ptr 0
		.amdhsa_user_sgpr_queue_ptr 0
		.amdhsa_user_sgpr_kernarg_segment_ptr 1
		.amdhsa_user_sgpr_dispatch_id 0
		.amdhsa_user_sgpr_kernarg_preload_length 0
		.amdhsa_user_sgpr_kernarg_preload_offset 0
		.amdhsa_user_sgpr_private_segment_size 0
		.amdhsa_uses_dynamic_stack 0
		.amdhsa_enable_private_segment 0
		.amdhsa_system_sgpr_workgroup_id_x 1
		.amdhsa_system_sgpr_workgroup_id_y 0
		.amdhsa_system_sgpr_workgroup_id_z 0
		.amdhsa_system_sgpr_workgroup_info 0
		.amdhsa_system_vgpr_workitem_id 0
		.amdhsa_next_free_vgpr 10
		.amdhsa_next_free_sgpr 10
		.amdhsa_accum_offset 12
		.amdhsa_reserve_vcc 1
		.amdhsa_float_round_mode_32 0
		.amdhsa_float_round_mode_16_64 0
		.amdhsa_float_denorm_mode_32 3
		.amdhsa_float_denorm_mode_16_64 3
		.amdhsa_dx10_clamp 1
		.amdhsa_ieee_mode 1
		.amdhsa_fp16_overflow 0
		.amdhsa_tg_split 0
		.amdhsa_exception_fp_ieee_invalid_op 0
		.amdhsa_exception_fp_denorm_src 0
		.amdhsa_exception_fp_ieee_div_zero 0
		.amdhsa_exception_fp_ieee_overflow 0
		.amdhsa_exception_fp_ieee_underflow 0
		.amdhsa_exception_fp_ieee_inexact 0
		.amdhsa_exception_int_div_zero 0
	.end_amdhsa_kernel
	.section	.text._Z6kernelI10flag_headsaLj256ELj3ELb0ELj100EEvPKT0_PS1_,"axG",@progbits,_Z6kernelI10flag_headsaLj256ELj3ELb0ELj100EEvPKT0_PS1_,comdat
.Lfunc_end12:
	.size	_Z6kernelI10flag_headsaLj256ELj3ELb0ELj100EEvPKT0_PS1_, .Lfunc_end12-_Z6kernelI10flag_headsaLj256ELj3ELb0ELj100EEvPKT0_PS1_
                                        ; -- End function
	.section	.AMDGPU.csdata,"",@progbits
; Kernel info:
; codeLenInByte = 384
; NumSgprs: 16
; NumVgprs: 10
; NumAgprs: 0
; TotalNumVgprs: 10
; ScratchSize: 0
; MemoryBound: 0
; FloatMode: 240
; IeeeMode: 1
; LDSByteSize: 512 bytes/workgroup (compile time only)
; SGPRBlocks: 1
; VGPRBlocks: 1
; NumSGPRsForWavesPerEU: 16
; NumVGPRsForWavesPerEU: 10
; AccumOffset: 12
; Occupancy: 8
; WaveLimiterHint : 1
; COMPUTE_PGM_RSRC2:SCRATCH_EN: 0
; COMPUTE_PGM_RSRC2:USER_SGPR: 2
; COMPUTE_PGM_RSRC2:TRAP_HANDLER: 0
; COMPUTE_PGM_RSRC2:TGID_X_EN: 1
; COMPUTE_PGM_RSRC2:TGID_Y_EN: 0
; COMPUTE_PGM_RSRC2:TGID_Z_EN: 0
; COMPUTE_PGM_RSRC2:TIDIG_COMP_CNT: 0
; COMPUTE_PGM_RSRC3_GFX90A:ACCUM_OFFSET: 2
; COMPUTE_PGM_RSRC3_GFX90A:TG_SPLIT: 0
	.section	.text._Z6kernelI10flag_headsaLj256ELj4ELb0ELj100EEvPKT0_PS1_,"axG",@progbits,_Z6kernelI10flag_headsaLj256ELj4ELb0ELj100EEvPKT0_PS1_,comdat
	.protected	_Z6kernelI10flag_headsaLj256ELj4ELb0ELj100EEvPKT0_PS1_ ; -- Begin function _Z6kernelI10flag_headsaLj256ELj4ELb0ELj100EEvPKT0_PS1_
	.globl	_Z6kernelI10flag_headsaLj256ELj4ELb0ELj100EEvPKT0_PS1_
	.p2align	8
	.type	_Z6kernelI10flag_headsaLj256ELj4ELb0ELj100EEvPKT0_PS1_,@function
_Z6kernelI10flag_headsaLj256ELj4ELb0ELj100EEvPKT0_PS1_: ; @_Z6kernelI10flag_headsaLj256ELj4ELb0ELj100EEvPKT0_PS1_
; %bb.0:
	s_load_dwordx4 s[4:7], s[0:1], 0x0
	s_lshl_b32 s2, s2, 10
	v_mov_b32_e32 v1, 0
	s_movk_i32 s3, 0x64
	v_cmp_ne_u32_e32 vcc, 0, v0
	s_waitcnt lgkmcnt(0)
	s_add_u32 s0, s4, s2
	s_addc_u32 s1, s5, 0
	global_load_ubyte v3, v0, s[0:1] offset:256
	global_load_ubyte v4, v0, s[0:1] offset:768
	global_load_ubyte v5, v0, s[0:1]
	global_load_ubyte v6, v0, s[0:1] offset:512
	s_movk_i32 s4, 0xff
	v_add_u32_e32 v2, -1, v0
	s_mov_b32 s5, 0x1ff0000
	s_waitcnt vmcnt(3)
	v_lshlrev_b16_e32 v3, 8, v3
	s_waitcnt vmcnt(2)
	v_lshlrev_b16_e32 v4, 8, v4
	s_waitcnt vmcnt(1)
	v_or_b32_e32 v3, v5, v3
	s_waitcnt vmcnt(0)
	v_or_b32_sdwa v4, v6, v4 dst_sel:WORD_1 dst_unused:UNUSED_PAD src0_sel:DWORD src1_sel:DWORD
	s_nop 0
	v_or_b32_sdwa v3, v3, v4 dst_sel:DWORD dst_unused:UNUSED_PAD src0_sel:WORD_0 src1_sel:DWORD
	s_branch .LBB13_2
.LBB13_1:                               ;   in Loop: Header=BB13_2 Depth=1
	s_or_b64 exec, exec, s[0:1]
	v_lshrrev_b32_e32 v9, 8, v8
	v_lshrrev_b32_e32 v7, 16, v8
	v_add_u16_e32 v5, v9, v5
	v_add_u16_sdwa v4, v8, v4 dst_sel:DWORD dst_unused:UNUSED_PAD src0_sel:BYTE_3 src1_sel:DWORD
	v_add_u16_e32 v6, v8, v3
	v_add_u16_sdwa v7, v7, v3 dst_sel:DWORD dst_unused:UNUSED_PAD src0_sel:DWORD src1_sel:WORD_1
	v_lshlrev_b16_e32 v3, 8, v5
	v_lshlrev_b16_e32 v8, 8, v4
	v_or_b32_sdwa v3, v6, v3 dst_sel:DWORD dst_unused:UNUSED_PAD src0_sel:BYTE_0 src1_sel:DWORD
	v_or_b32_sdwa v8, v7, v8 dst_sel:WORD_1 dst_unused:UNUSED_PAD src0_sel:BYTE_0 src1_sel:DWORD
	s_add_i32 s3, s3, -1
	v_or_b32_sdwa v3, v3, v8 dst_sel:DWORD dst_unused:UNUSED_PAD src0_sel:WORD_0 src1_sel:DWORD
	s_cmp_lg_u32 s3, 0
	s_barrier
	s_cbranch_scc0 .LBB13_4
.LBB13_2:                               ; =>This Inner Loop Header: Depth=1
	v_lshrrev_b32_e32 v4, 24, v3
	v_and_b32_sdwa v6, v3, s4 dst_sel:DWORD dst_unused:UNUSED_PAD src0_sel:WORD_1 src1_sel:DWORD
	v_cmp_eq_u16_e64 s[0:1], v6, v4
	v_lshrrev_b32_e32 v5, 8, v3
	ds_write_b8 v0, v4
	v_cndmask_b32_e64 v7, 0, 1, s[0:1]
	v_cmp_eq_u16_sdwa s[0:1], v5, v6 src0_sel:BYTE_0 src1_sel:DWORD
	v_lshlrev_b16_e32 v7, 8, v7
	s_waitcnt lgkmcnt(0)
	v_cndmask_b32_e64 v6, 0, 1, s[0:1]
	v_cmp_eq_u16_sdwa s[0:1], v3, v5 src0_sel:BYTE_0 src1_sel:BYTE_0
	v_or_b32_sdwa v6, v6, v7 dst_sel:WORD_1 dst_unused:UNUSED_PAD src0_sel:DWORD src1_sel:DWORD
	s_barrier
	v_cndmask_b32_e64 v8, 0, 1, s[0:1]
	v_lshlrev_b16_e32 v7, 8, v8
	v_or_b32_e32 v7, 1, v7
	v_or_b32_sdwa v8, v7, v6 dst_sel:DWORD dst_unused:UNUSED_PAD src0_sel:WORD_0 src1_sel:DWORD
	s_and_saveexec_b64 s[0:1], vcc
	s_cbranch_execz .LBB13_1
; %bb.3:                                ;   in Loop: Header=BB13_2 Depth=1
	ds_read_u8 v6, v2
	v_and_b32_e32 v7, 0xffffff00, v8
	s_waitcnt lgkmcnt(0)
	v_cmp_eq_u16_sdwa s[8:9], v6, v3 src0_sel:DWORD src1_sel:BYTE_0
	s_nop 1
	v_cndmask_b32_e64 v6, 0, 1, s[8:9]
	v_or_b32_e32 v6, v6, v7
	v_and_b32_e32 v6, 0xffff, v6
	v_and_or_b32 v8, v8, s5, v6
	s_branch .LBB13_1
.LBB13_4:
	s_add_u32 s0, s6, s2
	s_addc_u32 s1, s7, 0
	v_lshl_add_u64 v[0:1], s[0:1], 0, v[0:1]
	global_store_byte v[0:1], v6, off
	global_store_byte v[0:1], v5, off offset:256
	global_store_byte v[0:1], v7, off offset:512
	;; [unrolled: 1-line block ×3, first 2 shown]
	s_endpgm
	.section	.rodata,"a",@progbits
	.p2align	6, 0x0
	.amdhsa_kernel _Z6kernelI10flag_headsaLj256ELj4ELb0ELj100EEvPKT0_PS1_
		.amdhsa_group_segment_fixed_size 512
		.amdhsa_private_segment_fixed_size 0
		.amdhsa_kernarg_size 16
		.amdhsa_user_sgpr_count 2
		.amdhsa_user_sgpr_dispatch_ptr 0
		.amdhsa_user_sgpr_queue_ptr 0
		.amdhsa_user_sgpr_kernarg_segment_ptr 1
		.amdhsa_user_sgpr_dispatch_id 0
		.amdhsa_user_sgpr_kernarg_preload_length 0
		.amdhsa_user_sgpr_kernarg_preload_offset 0
		.amdhsa_user_sgpr_private_segment_size 0
		.amdhsa_uses_dynamic_stack 0
		.amdhsa_enable_private_segment 0
		.amdhsa_system_sgpr_workgroup_id_x 1
		.amdhsa_system_sgpr_workgroup_id_y 0
		.amdhsa_system_sgpr_workgroup_id_z 0
		.amdhsa_system_sgpr_workgroup_info 0
		.amdhsa_system_vgpr_workitem_id 0
		.amdhsa_next_free_vgpr 10
		.amdhsa_next_free_sgpr 10
		.amdhsa_accum_offset 12
		.amdhsa_reserve_vcc 1
		.amdhsa_float_round_mode_32 0
		.amdhsa_float_round_mode_16_64 0
		.amdhsa_float_denorm_mode_32 3
		.amdhsa_float_denorm_mode_16_64 3
		.amdhsa_dx10_clamp 1
		.amdhsa_ieee_mode 1
		.amdhsa_fp16_overflow 0
		.amdhsa_tg_split 0
		.amdhsa_exception_fp_ieee_invalid_op 0
		.amdhsa_exception_fp_denorm_src 0
		.amdhsa_exception_fp_ieee_div_zero 0
		.amdhsa_exception_fp_ieee_overflow 0
		.amdhsa_exception_fp_ieee_underflow 0
		.amdhsa_exception_fp_ieee_inexact 0
		.amdhsa_exception_int_div_zero 0
	.end_amdhsa_kernel
	.section	.text._Z6kernelI10flag_headsaLj256ELj4ELb0ELj100EEvPKT0_PS1_,"axG",@progbits,_Z6kernelI10flag_headsaLj256ELj4ELb0ELj100EEvPKT0_PS1_,comdat
.Lfunc_end13:
	.size	_Z6kernelI10flag_headsaLj256ELj4ELb0ELj100EEvPKT0_PS1_, .Lfunc_end13-_Z6kernelI10flag_headsaLj256ELj4ELb0ELj100EEvPKT0_PS1_
                                        ; -- End function
	.section	.AMDGPU.csdata,"",@progbits
; Kernel info:
; codeLenInByte = 452
; NumSgprs: 16
; NumVgprs: 10
; NumAgprs: 0
; TotalNumVgprs: 10
; ScratchSize: 0
; MemoryBound: 0
; FloatMode: 240
; IeeeMode: 1
; LDSByteSize: 512 bytes/workgroup (compile time only)
; SGPRBlocks: 1
; VGPRBlocks: 1
; NumSGPRsForWavesPerEU: 16
; NumVGPRsForWavesPerEU: 10
; AccumOffset: 12
; Occupancy: 8
; WaveLimiterHint : 1
; COMPUTE_PGM_RSRC2:SCRATCH_EN: 0
; COMPUTE_PGM_RSRC2:USER_SGPR: 2
; COMPUTE_PGM_RSRC2:TRAP_HANDLER: 0
; COMPUTE_PGM_RSRC2:TGID_X_EN: 1
; COMPUTE_PGM_RSRC2:TGID_Y_EN: 0
; COMPUTE_PGM_RSRC2:TGID_Z_EN: 0
; COMPUTE_PGM_RSRC2:TIDIG_COMP_CNT: 0
; COMPUTE_PGM_RSRC3_GFX90A:ACCUM_OFFSET: 2
; COMPUTE_PGM_RSRC3_GFX90A:TG_SPLIT: 0
	.section	.text._Z6kernelI10flag_headsaLj256ELj8ELb0ELj100EEvPKT0_PS1_,"axG",@progbits,_Z6kernelI10flag_headsaLj256ELj8ELb0ELj100EEvPKT0_PS1_,comdat
	.protected	_Z6kernelI10flag_headsaLj256ELj8ELb0ELj100EEvPKT0_PS1_ ; -- Begin function _Z6kernelI10flag_headsaLj256ELj8ELb0ELj100EEvPKT0_PS1_
	.globl	_Z6kernelI10flag_headsaLj256ELj8ELb0ELj100EEvPKT0_PS1_
	.p2align	8
	.type	_Z6kernelI10flag_headsaLj256ELj8ELb0ELj100EEvPKT0_PS1_,@function
_Z6kernelI10flag_headsaLj256ELj8ELb0ELj100EEvPKT0_PS1_: ; @_Z6kernelI10flag_headsaLj256ELj8ELb0ELj100EEvPKT0_PS1_
; %bb.0:
	s_load_dwordx4 s[4:7], s[0:1], 0x0
	s_lshl_b32 s2, s2, 11
	v_mov_b32_e32 v1, 0
	s_movk_i32 s3, 0x64
	v_cmp_ne_u32_e32 vcc, 0, v0
	s_waitcnt lgkmcnt(0)
	s_add_u32 s0, s4, s2
	s_addc_u32 s1, s5, 0
	global_load_ubyte v2, v0, s[0:1] offset:256
	global_load_ubyte v3, v0, s[0:1] offset:768
	;; [unrolled: 1-line block ×4, first 2 shown]
	global_load_ubyte v7, v0, s[0:1]
	global_load_ubyte v8, v0, s[0:1] offset:512
	global_load_ubyte v9, v0, s[0:1] offset:1024
	;; [unrolled: 1-line block ×3, first 2 shown]
	s_movk_i32 s4, 0xff
	v_add_u32_e32 v6, -1, v0
	s_waitcnt vmcnt(7)
	v_lshlrev_b16_e32 v2, 8, v2
	s_waitcnt vmcnt(6)
	v_lshlrev_b16_e32 v3, 8, v3
	;; [unrolled: 2-line block ×4, first 2 shown]
	s_waitcnt vmcnt(3)
	v_or_b32_e32 v2, v7, v2
	s_waitcnt vmcnt(2)
	v_or_b32_sdwa v3, v8, v3 dst_sel:WORD_1 dst_unused:UNUSED_PAD src0_sel:DWORD src1_sel:DWORD
	s_waitcnt vmcnt(1)
	v_or_b32_e32 v4, v9, v4
	s_waitcnt vmcnt(0)
	v_or_b32_sdwa v5, v10, v5 dst_sel:WORD_1 dst_unused:UNUSED_PAD src0_sel:DWORD src1_sel:DWORD
	v_or_b32_sdwa v2, v2, v3 dst_sel:DWORD dst_unused:UNUSED_PAD src0_sel:WORD_0 src1_sel:DWORD
	v_or_b32_sdwa v3, v4, v5 dst_sel:DWORD dst_unused:UNUSED_PAD src0_sel:WORD_0 src1_sel:DWORD
	v_mov_b32_e32 v7, 8
	s_branch .LBB14_2
.LBB14_1:                               ;   in Loop: Header=BB14_2 Depth=1
	s_or_b64 exec, exec, s[0:1]
	v_lshrrev_b32_e32 v13, 8, v11
	v_lshrrev_b32_e32 v14, 16, v10
	v_add_u16_e32 v5, v13, v5
	v_lshrrev_b32_e32 v13, 16, v11
	v_add_u16_sdwa v4, v11, v4 dst_sel:DWORD dst_unused:UNUSED_PAD src0_sel:BYTE_3 src1_sel:DWORD
	v_lshrrev_b32_e32 v15, 8, v10
	v_add_u16_e32 v12, v11, v2
	v_add_u16_sdwa v13, v13, v2 dst_sel:DWORD dst_unused:UNUSED_PAD src0_sel:DWORD src1_sel:WORD_1
	v_add_u16_e32 v11, v10, v3
	v_add_u16_sdwa v14, v14, v3 dst_sel:DWORD dst_unused:UNUSED_PAD src0_sel:DWORD src1_sel:WORD_1
	v_lshlrev_b16_e32 v2, 8, v5
	v_lshlrev_b16_e32 v3, 8, v4
	v_add_u16_e32 v9, v15, v9
	v_add_u16_sdwa v8, v10, v8 dst_sel:DWORD dst_unused:UNUSED_PAD src0_sel:BYTE_3 src1_sel:DWORD
	v_or_b32_sdwa v2, v12, v2 dst_sel:DWORD dst_unused:UNUSED_PAD src0_sel:BYTE_0 src1_sel:DWORD
	v_or_b32_sdwa v3, v13, v3 dst_sel:WORD_1 dst_unused:UNUSED_PAD src0_sel:BYTE_0 src1_sel:DWORD
	v_lshlrev_b16_e32 v10, 8, v8
	v_or_b32_sdwa v2, v2, v3 dst_sel:DWORD dst_unused:UNUSED_PAD src0_sel:WORD_0 src1_sel:DWORD
	v_lshlrev_b16_e32 v3, 8, v9
	v_or_b32_sdwa v3, v11, v3 dst_sel:DWORD dst_unused:UNUSED_PAD src0_sel:BYTE_0 src1_sel:DWORD
	v_or_b32_sdwa v10, v14, v10 dst_sel:WORD_1 dst_unused:UNUSED_PAD src0_sel:BYTE_0 src1_sel:DWORD
	s_add_i32 s3, s3, -1
	s_cmp_lg_u32 s3, 0
	v_or_b32_sdwa v3, v3, v10 dst_sel:DWORD dst_unused:UNUSED_PAD src0_sel:WORD_0 src1_sel:DWORD
	s_barrier
	s_cbranch_scc0 .LBB14_4
.LBB14_2:                               ; =>This Inner Loop Header: Depth=1
	v_lshrrev_b32_e32 v8, 24, v3
	v_and_b32_sdwa v4, v3, s4 dst_sel:DWORD dst_unused:UNUSED_PAD src0_sel:WORD_1 src1_sel:DWORD
	v_lshrrev_b32_e32 v9, 8, v3
	v_cmp_eq_u16_e64 s[0:1], v4, v8
	v_and_b32_sdwa v11, v2, s4 dst_sel:DWORD dst_unused:UNUSED_PAD src0_sel:WORD_1 src1_sel:DWORD
	ds_write_b8 v0, v8
	v_cndmask_b32_e64 v10, 0, 1, s[0:1]
	v_cmp_eq_u16_sdwa s[0:1], v9, v4 src0_sel:BYTE_0 src1_sel:DWORD
	v_lshrrev_b64 v[4:5], 24, v[2:3]
	v_lshrrev_b32_e32 v5, 8, v2
	v_cndmask_b32_e64 v12, 0, 1, s[0:1]
	v_cmp_eq_u16_sdwa s[0:1], v3, v9 src0_sel:BYTE_0 src1_sel:BYTE_0
	v_lshlrev_b16_e32 v10, 8, v10
	v_or_b32_sdwa v10, v12, v10 dst_sel:WORD_1 dst_unused:UNUSED_PAD src0_sel:DWORD src1_sel:DWORD
	v_cndmask_b32_e64 v13, 0, 1, s[0:1]
	v_cmp_eq_u16_sdwa s[0:1], v4, v3 src0_sel:BYTE_0 src1_sel:BYTE_0
	v_lshlrev_b16_e32 v13, 8, v13
	s_waitcnt lgkmcnt(0)
	v_cndmask_b32_e64 v14, 0, 1, s[0:1]
	v_cmp_eq_u16_sdwa s[0:1], v11, v4 src0_sel:DWORD src1_sel:BYTE_0
	v_or_b32_e32 v13, v14, v13
	v_or_b32_sdwa v10, v13, v10 dst_sel:DWORD dst_unused:UNUSED_PAD src0_sel:WORD_0 src1_sel:DWORD
	v_cndmask_b32_e64 v15, 0, 1, s[0:1]
	v_cmp_eq_u16_sdwa s[0:1], v5, v11 src0_sel:BYTE_0 src1_sel:DWORD
	v_lshlrev_b16_e32 v15, 8, v15
	s_barrier
	v_cndmask_b32_e64 v11, 0, 1, s[0:1]
	v_cmp_eq_u16_sdwa s[0:1], v2, v5 src0_sel:BYTE_0 src1_sel:BYTE_0
	v_or_b32_sdwa v11, v11, v15 dst_sel:WORD_1 dst_unused:UNUSED_PAD src0_sel:DWORD src1_sel:DWORD
	s_nop 0
	v_cndmask_b32_e64 v16, 0, 1, s[0:1]
	v_lshlrev_b16_e32 v15, 8, v16
	v_or_b32_e32 v15, 1, v15
	v_or_b32_sdwa v11, v15, v11 dst_sel:DWORD dst_unused:UNUSED_PAD src0_sel:WORD_0 src1_sel:DWORD
	s_and_saveexec_b64 s[0:1], vcc
	s_cbranch_execz .LBB14_1
; %bb.3:                                ;   in Loop: Header=BB14_2 Depth=1
	ds_read_u8 v12, v6
	v_lshrrev_b32_e32 v14, 24, v11
	v_lshrrev_b32_sdwa v13, v7, v11 dst_sel:BYTE_1 dst_unused:UNUSED_PAD src0_sel:DWORD src1_sel:DWORD
	v_lshlrev_b16_e32 v14, 8, v14
	v_and_b32_sdwa v11, v11, s4 dst_sel:DWORD dst_unused:UNUSED_PAD src0_sel:WORD_1 src1_sel:DWORD
	s_waitcnt lgkmcnt(0)
	v_cmp_eq_u16_sdwa s[8:9], v12, v2 src0_sel:DWORD src1_sel:BYTE_0
	v_or_b32_sdwa v11, v11, v14 dst_sel:WORD_1 dst_unused:UNUSED_PAD src0_sel:DWORD src1_sel:DWORD
	s_nop 0
	v_cndmask_b32_e64 v12, 0, 1, s[8:9]
	v_or_b32_e32 v12, v12, v13
	v_or_b32_sdwa v11, v12, v11 dst_sel:DWORD dst_unused:UNUSED_PAD src0_sel:WORD_0 src1_sel:DWORD
	s_branch .LBB14_1
.LBB14_4:
	s_add_u32 s0, s6, s2
	s_addc_u32 s1, s7, 0
	v_lshl_add_u64 v[0:1], s[0:1], 0, v[0:1]
	global_store_byte v[0:1], v12, off
	global_store_byte v[0:1], v5, off offset:256
	global_store_byte v[0:1], v13, off offset:512
	global_store_byte v[0:1], v4, off offset:768
	global_store_byte v[0:1], v11, off offset:1024
	global_store_byte v[0:1], v9, off offset:1280
	global_store_byte v[0:1], v14, off offset:1536
	global_store_byte v[0:1], v8, off offset:1792
	s_endpgm
	.section	.rodata,"a",@progbits
	.p2align	6, 0x0
	.amdhsa_kernel _Z6kernelI10flag_headsaLj256ELj8ELb0ELj100EEvPKT0_PS1_
		.amdhsa_group_segment_fixed_size 512
		.amdhsa_private_segment_fixed_size 0
		.amdhsa_kernarg_size 16
		.amdhsa_user_sgpr_count 2
		.amdhsa_user_sgpr_dispatch_ptr 0
		.amdhsa_user_sgpr_queue_ptr 0
		.amdhsa_user_sgpr_kernarg_segment_ptr 1
		.amdhsa_user_sgpr_dispatch_id 0
		.amdhsa_user_sgpr_kernarg_preload_length 0
		.amdhsa_user_sgpr_kernarg_preload_offset 0
		.amdhsa_user_sgpr_private_segment_size 0
		.amdhsa_uses_dynamic_stack 0
		.amdhsa_enable_private_segment 0
		.amdhsa_system_sgpr_workgroup_id_x 1
		.amdhsa_system_sgpr_workgroup_id_y 0
		.amdhsa_system_sgpr_workgroup_id_z 0
		.amdhsa_system_sgpr_workgroup_info 0
		.amdhsa_system_vgpr_workitem_id 0
		.amdhsa_next_free_vgpr 17
		.amdhsa_next_free_sgpr 10
		.amdhsa_accum_offset 20
		.amdhsa_reserve_vcc 1
		.amdhsa_float_round_mode_32 0
		.amdhsa_float_round_mode_16_64 0
		.amdhsa_float_denorm_mode_32 3
		.amdhsa_float_denorm_mode_16_64 3
		.amdhsa_dx10_clamp 1
		.amdhsa_ieee_mode 1
		.amdhsa_fp16_overflow 0
		.amdhsa_tg_split 0
		.amdhsa_exception_fp_ieee_invalid_op 0
		.amdhsa_exception_fp_denorm_src 0
		.amdhsa_exception_fp_ieee_div_zero 0
		.amdhsa_exception_fp_ieee_overflow 0
		.amdhsa_exception_fp_ieee_underflow 0
		.amdhsa_exception_fp_ieee_inexact 0
		.amdhsa_exception_int_div_zero 0
	.end_amdhsa_kernel
	.section	.text._Z6kernelI10flag_headsaLj256ELj8ELb0ELj100EEvPKT0_PS1_,"axG",@progbits,_Z6kernelI10flag_headsaLj256ELj8ELb0ELj100EEvPKT0_PS1_,comdat
.Lfunc_end14:
	.size	_Z6kernelI10flag_headsaLj256ELj8ELb0ELj100EEvPKT0_PS1_, .Lfunc_end14-_Z6kernelI10flag_headsaLj256ELj8ELb0ELj100EEvPKT0_PS1_
                                        ; -- End function
	.section	.AMDGPU.csdata,"",@progbits
; Kernel info:
; codeLenInByte = 748
; NumSgprs: 16
; NumVgprs: 17
; NumAgprs: 0
; TotalNumVgprs: 17
; ScratchSize: 0
; MemoryBound: 0
; FloatMode: 240
; IeeeMode: 1
; LDSByteSize: 512 bytes/workgroup (compile time only)
; SGPRBlocks: 1
; VGPRBlocks: 2
; NumSGPRsForWavesPerEU: 16
; NumVGPRsForWavesPerEU: 17
; AccumOffset: 20
; Occupancy: 8
; WaveLimiterHint : 1
; COMPUTE_PGM_RSRC2:SCRATCH_EN: 0
; COMPUTE_PGM_RSRC2:USER_SGPR: 2
; COMPUTE_PGM_RSRC2:TRAP_HANDLER: 0
; COMPUTE_PGM_RSRC2:TGID_X_EN: 1
; COMPUTE_PGM_RSRC2:TGID_Y_EN: 0
; COMPUTE_PGM_RSRC2:TGID_Z_EN: 0
; COMPUTE_PGM_RSRC2:TIDIG_COMP_CNT: 0
; COMPUTE_PGM_RSRC3_GFX90A:ACCUM_OFFSET: 4
; COMPUTE_PGM_RSRC3_GFX90A:TG_SPLIT: 0
	.section	.text._Z6kernelI10flag_headsaLj256ELj1ELb1ELj100EEvPKT0_PS1_,"axG",@progbits,_Z6kernelI10flag_headsaLj256ELj1ELb1ELj100EEvPKT0_PS1_,comdat
	.protected	_Z6kernelI10flag_headsaLj256ELj1ELb1ELj100EEvPKT0_PS1_ ; -- Begin function _Z6kernelI10flag_headsaLj256ELj1ELb1ELj100EEvPKT0_PS1_
	.globl	_Z6kernelI10flag_headsaLj256ELj1ELb1ELj100EEvPKT0_PS1_
	.p2align	8
	.type	_Z6kernelI10flag_headsaLj256ELj1ELb1ELj100EEvPKT0_PS1_,@function
_Z6kernelI10flag_headsaLj256ELj1ELb1ELj100EEvPKT0_PS1_: ; @_Z6kernelI10flag_headsaLj256ELj1ELb1ELj100EEvPKT0_PS1_
; %bb.0:
	s_load_dwordx4 s[4:7], s[0:1], 0x0
	s_lshl_b32 s2, s2, 8
	v_mov_b32_e32 v1, 0
	v_cmp_ne_u32_e32 vcc, 0, v0
	v_add_u32_e32 v3, -1, v0
	s_waitcnt lgkmcnt(0)
	s_add_u32 s0, s4, s2
	s_addc_u32 s1, s5, 0
	global_load_ubyte v2, v0, s[0:1]
	s_movk_i32 s3, 0x64
	s_branch .LBB15_2
.LBB15_1:                               ;   in Loop: Header=BB15_2 Depth=1
	s_or_b64 exec, exec, s[0:1]
	s_waitcnt lgkmcnt(0)
	v_cmp_eq_u16_sdwa s[0:1], v4, v2 src0_sel:BYTE_0 src1_sel:BYTE_0
	s_add_i32 s3, s3, -1
	s_cmp_lg_u32 s3, 0
	v_cndmask_b32_e64 v4, 0, 1, s[0:1]
	v_add_u16_e32 v2, v2, v4
	s_barrier
	s_cbranch_scc0 .LBB15_4
.LBB15_2:                               ; =>This Inner Loop Header: Depth=1
	v_mov_b32_e32 v4, 0x7b
	s_waitcnt vmcnt(0)
	ds_write_b8 v0, v2
	s_waitcnt lgkmcnt(0)
	s_barrier
	s_and_saveexec_b64 s[0:1], vcc
	s_cbranch_execz .LBB15_1
; %bb.3:                                ;   in Loop: Header=BB15_2 Depth=1
	ds_read_u8 v4, v3
	s_branch .LBB15_1
.LBB15_4:
	s_add_u32 s0, s6, s2
	s_addc_u32 s1, s7, 0
	v_lshl_add_u64 v[0:1], s[0:1], 0, v[0:1]
	global_store_byte v[0:1], v2, off
	s_endpgm
	.section	.rodata,"a",@progbits
	.p2align	6, 0x0
	.amdhsa_kernel _Z6kernelI10flag_headsaLj256ELj1ELb1ELj100EEvPKT0_PS1_
		.amdhsa_group_segment_fixed_size 512
		.amdhsa_private_segment_fixed_size 0
		.amdhsa_kernarg_size 16
		.amdhsa_user_sgpr_count 2
		.amdhsa_user_sgpr_dispatch_ptr 0
		.amdhsa_user_sgpr_queue_ptr 0
		.amdhsa_user_sgpr_kernarg_segment_ptr 1
		.amdhsa_user_sgpr_dispatch_id 0
		.amdhsa_user_sgpr_kernarg_preload_length 0
		.amdhsa_user_sgpr_kernarg_preload_offset 0
		.amdhsa_user_sgpr_private_segment_size 0
		.amdhsa_uses_dynamic_stack 0
		.amdhsa_enable_private_segment 0
		.amdhsa_system_sgpr_workgroup_id_x 1
		.amdhsa_system_sgpr_workgroup_id_y 0
		.amdhsa_system_sgpr_workgroup_id_z 0
		.amdhsa_system_sgpr_workgroup_info 0
		.amdhsa_system_vgpr_workitem_id 0
		.amdhsa_next_free_vgpr 5
		.amdhsa_next_free_sgpr 8
		.amdhsa_accum_offset 8
		.amdhsa_reserve_vcc 1
		.amdhsa_float_round_mode_32 0
		.amdhsa_float_round_mode_16_64 0
		.amdhsa_float_denorm_mode_32 3
		.amdhsa_float_denorm_mode_16_64 3
		.amdhsa_dx10_clamp 1
		.amdhsa_ieee_mode 1
		.amdhsa_fp16_overflow 0
		.amdhsa_tg_split 0
		.amdhsa_exception_fp_ieee_invalid_op 0
		.amdhsa_exception_fp_denorm_src 0
		.amdhsa_exception_fp_ieee_div_zero 0
		.amdhsa_exception_fp_ieee_overflow 0
		.amdhsa_exception_fp_ieee_underflow 0
		.amdhsa_exception_fp_ieee_inexact 0
		.amdhsa_exception_int_div_zero 0
	.end_amdhsa_kernel
	.section	.text._Z6kernelI10flag_headsaLj256ELj1ELb1ELj100EEvPKT0_PS1_,"axG",@progbits,_Z6kernelI10flag_headsaLj256ELj1ELb1ELj100EEvPKT0_PS1_,comdat
.Lfunc_end15:
	.size	_Z6kernelI10flag_headsaLj256ELj1ELb1ELj100EEvPKT0_PS1_, .Lfunc_end15-_Z6kernelI10flag_headsaLj256ELj1ELb1ELj100EEvPKT0_PS1_
                                        ; -- End function
	.section	.AMDGPU.csdata,"",@progbits
; Kernel info:
; codeLenInByte = 172
; NumSgprs: 14
; NumVgprs: 5
; NumAgprs: 0
; TotalNumVgprs: 5
; ScratchSize: 0
; MemoryBound: 0
; FloatMode: 240
; IeeeMode: 1
; LDSByteSize: 512 bytes/workgroup (compile time only)
; SGPRBlocks: 1
; VGPRBlocks: 0
; NumSGPRsForWavesPerEU: 14
; NumVGPRsForWavesPerEU: 5
; AccumOffset: 8
; Occupancy: 8
; WaveLimiterHint : 0
; COMPUTE_PGM_RSRC2:SCRATCH_EN: 0
; COMPUTE_PGM_RSRC2:USER_SGPR: 2
; COMPUTE_PGM_RSRC2:TRAP_HANDLER: 0
; COMPUTE_PGM_RSRC2:TGID_X_EN: 1
; COMPUTE_PGM_RSRC2:TGID_Y_EN: 0
; COMPUTE_PGM_RSRC2:TGID_Z_EN: 0
; COMPUTE_PGM_RSRC2:TIDIG_COMP_CNT: 0
; COMPUTE_PGM_RSRC3_GFX90A:ACCUM_OFFSET: 1
; COMPUTE_PGM_RSRC3_GFX90A:TG_SPLIT: 0
	.section	.text._Z6kernelI10flag_headsaLj256ELj2ELb1ELj100EEvPKT0_PS1_,"axG",@progbits,_Z6kernelI10flag_headsaLj256ELj2ELb1ELj100EEvPKT0_PS1_,comdat
	.protected	_Z6kernelI10flag_headsaLj256ELj2ELb1ELj100EEvPKT0_PS1_ ; -- Begin function _Z6kernelI10flag_headsaLj256ELj2ELb1ELj100EEvPKT0_PS1_
	.globl	_Z6kernelI10flag_headsaLj256ELj2ELb1ELj100EEvPKT0_PS1_
	.p2align	8
	.type	_Z6kernelI10flag_headsaLj256ELj2ELb1ELj100EEvPKT0_PS1_,@function
_Z6kernelI10flag_headsaLj256ELj2ELb1ELj100EEvPKT0_PS1_: ; @_Z6kernelI10flag_headsaLj256ELj2ELb1ELj100EEvPKT0_PS1_
; %bb.0:
	s_load_dwordx4 s[4:7], s[0:1], 0x0
	s_lshl_b32 s2, s2, 9
	v_mov_b32_e32 v1, 0
	v_cmp_ne_u32_e32 vcc, 0, v0
	v_add_u32_e32 v2, -1, v0
	s_waitcnt lgkmcnt(0)
	s_add_u32 s0, s4, s2
	s_addc_u32 s1, s5, 0
	global_load_ubyte v3, v0, s[0:1] offset:256
	global_load_ubyte v4, v0, s[0:1]
	s_movk_i32 s3, 0x64
	s_waitcnt vmcnt(1)
	v_lshlrev_b16_e32 v3, 8, v3
	s_waitcnt vmcnt(0)
	v_or_b32_e32 v3, v4, v3
	v_and_b32_e32 v3, 0xffff, v3
	s_branch .LBB16_2
.LBB16_1:                               ;   in Loop: Header=BB16_2 Depth=1
	s_or_b64 exec, exec, s[0:1]
	v_cmp_eq_u16_sdwa s[0:1], v3, v4 src0_sel:BYTE_0 src1_sel:DWORD
	s_add_i32 s3, s3, -1
	s_cmp_lg_u32 s3, 0
	v_cndmask_b32_e64 v6, 0, 1, s[0:1]
	s_waitcnt lgkmcnt(0)
	v_cmp_eq_u16_sdwa s[0:1], v5, v3 src0_sel:BYTE_0 src1_sel:BYTE_0
	v_add_u16_e32 v4, v4, v6
	s_nop 0
	v_cndmask_b32_e64 v5, 0, 1, s[0:1]
	v_add_u16_e32 v5, v3, v5
	v_lshlrev_b16_e32 v3, 8, v4
	v_or_b32_sdwa v3, v5, v3 dst_sel:DWORD dst_unused:UNUSED_PAD src0_sel:BYTE_0 src1_sel:DWORD
	v_and_b32_e32 v3, 0xffff, v3
	s_barrier
	s_cbranch_scc0 .LBB16_4
.LBB16_2:                               ; =>This Inner Loop Header: Depth=1
	v_lshrrev_b16_e32 v4, 8, v3
	v_mov_b32_e32 v5, 0x7b
	ds_write_b8 v0, v4
	s_waitcnt lgkmcnt(0)
	s_barrier
	s_and_saveexec_b64 s[0:1], vcc
	s_cbranch_execz .LBB16_1
; %bb.3:                                ;   in Loop: Header=BB16_2 Depth=1
	ds_read_u8 v5, v2
	s_branch .LBB16_1
.LBB16_4:
	s_add_u32 s0, s6, s2
	s_addc_u32 s1, s7, 0
	v_lshl_add_u64 v[0:1], s[0:1], 0, v[0:1]
	global_store_byte v[0:1], v5, off
	global_store_byte v[0:1], v4, off offset:256
	s_endpgm
	.section	.rodata,"a",@progbits
	.p2align	6, 0x0
	.amdhsa_kernel _Z6kernelI10flag_headsaLj256ELj2ELb1ELj100EEvPKT0_PS1_
		.amdhsa_group_segment_fixed_size 512
		.amdhsa_private_segment_fixed_size 0
		.amdhsa_kernarg_size 16
		.amdhsa_user_sgpr_count 2
		.amdhsa_user_sgpr_dispatch_ptr 0
		.amdhsa_user_sgpr_queue_ptr 0
		.amdhsa_user_sgpr_kernarg_segment_ptr 1
		.amdhsa_user_sgpr_dispatch_id 0
		.amdhsa_user_sgpr_kernarg_preload_length 0
		.amdhsa_user_sgpr_kernarg_preload_offset 0
		.amdhsa_user_sgpr_private_segment_size 0
		.amdhsa_uses_dynamic_stack 0
		.amdhsa_enable_private_segment 0
		.amdhsa_system_sgpr_workgroup_id_x 1
		.amdhsa_system_sgpr_workgroup_id_y 0
		.amdhsa_system_sgpr_workgroup_id_z 0
		.amdhsa_system_sgpr_workgroup_info 0
		.amdhsa_system_vgpr_workitem_id 0
		.amdhsa_next_free_vgpr 7
		.amdhsa_next_free_sgpr 8
		.amdhsa_accum_offset 8
		.amdhsa_reserve_vcc 1
		.amdhsa_float_round_mode_32 0
		.amdhsa_float_round_mode_16_64 0
		.amdhsa_float_denorm_mode_32 3
		.amdhsa_float_denorm_mode_16_64 3
		.amdhsa_dx10_clamp 1
		.amdhsa_ieee_mode 1
		.amdhsa_fp16_overflow 0
		.amdhsa_tg_split 0
		.amdhsa_exception_fp_ieee_invalid_op 0
		.amdhsa_exception_fp_denorm_src 0
		.amdhsa_exception_fp_ieee_div_zero 0
		.amdhsa_exception_fp_ieee_overflow 0
		.amdhsa_exception_fp_ieee_underflow 0
		.amdhsa_exception_fp_ieee_inexact 0
		.amdhsa_exception_int_div_zero 0
	.end_amdhsa_kernel
	.section	.text._Z6kernelI10flag_headsaLj256ELj2ELb1ELj100EEvPKT0_PS1_,"axG",@progbits,_Z6kernelI10flag_headsaLj256ELj2ELb1ELj100EEvPKT0_PS1_,comdat
.Lfunc_end16:
	.size	_Z6kernelI10flag_headsaLj256ELj2ELb1ELj100EEvPKT0_PS1_, .Lfunc_end16-_Z6kernelI10flag_headsaLj256ELj2ELb1ELj100EEvPKT0_PS1_
                                        ; -- End function
	.section	.AMDGPU.csdata,"",@progbits
; Kernel info:
; codeLenInByte = 256
; NumSgprs: 14
; NumVgprs: 7
; NumAgprs: 0
; TotalNumVgprs: 7
; ScratchSize: 0
; MemoryBound: 0
; FloatMode: 240
; IeeeMode: 1
; LDSByteSize: 512 bytes/workgroup (compile time only)
; SGPRBlocks: 1
; VGPRBlocks: 0
; NumSGPRsForWavesPerEU: 14
; NumVGPRsForWavesPerEU: 7
; AccumOffset: 8
; Occupancy: 8
; WaveLimiterHint : 1
; COMPUTE_PGM_RSRC2:SCRATCH_EN: 0
; COMPUTE_PGM_RSRC2:USER_SGPR: 2
; COMPUTE_PGM_RSRC2:TRAP_HANDLER: 0
; COMPUTE_PGM_RSRC2:TGID_X_EN: 1
; COMPUTE_PGM_RSRC2:TGID_Y_EN: 0
; COMPUTE_PGM_RSRC2:TGID_Z_EN: 0
; COMPUTE_PGM_RSRC2:TIDIG_COMP_CNT: 0
; COMPUTE_PGM_RSRC3_GFX90A:ACCUM_OFFSET: 1
; COMPUTE_PGM_RSRC3_GFX90A:TG_SPLIT: 0
	.section	.text._Z6kernelI10flag_headsaLj256ELj3ELb1ELj100EEvPKT0_PS1_,"axG",@progbits,_Z6kernelI10flag_headsaLj256ELj3ELb1ELj100EEvPKT0_PS1_,comdat
	.protected	_Z6kernelI10flag_headsaLj256ELj3ELb1ELj100EEvPKT0_PS1_ ; -- Begin function _Z6kernelI10flag_headsaLj256ELj3ELb1ELj100EEvPKT0_PS1_
	.globl	_Z6kernelI10flag_headsaLj256ELj3ELb1ELj100EEvPKT0_PS1_
	.p2align	8
	.type	_Z6kernelI10flag_headsaLj256ELj3ELb1ELj100EEvPKT0_PS1_,@function
_Z6kernelI10flag_headsaLj256ELj3ELb1ELj100EEvPKT0_PS1_: ; @_Z6kernelI10flag_headsaLj256ELj3ELb1ELj100EEvPKT0_PS1_
; %bb.0:
	s_load_dwordx4 s[4:7], s[0:1], 0x0
	s_mulk_i32 s2, 0x300
	v_mov_b32_e32 v1, 0
	v_cmp_ne_u32_e32 vcc, 0, v0
	v_add_u32_e32 v2, -1, v0
	s_waitcnt lgkmcnt(0)
	s_add_u32 s0, s4, s2
	s_addc_u32 s1, s5, 0
	global_load_ubyte v3, v0, s[0:1] offset:256
	global_load_ubyte v4, v0, s[0:1]
	global_load_ubyte v5, v0, s[0:1] offset:512
	s_movk_i32 s3, 0x64
	s_waitcnt vmcnt(2)
	v_lshlrev_b16_e32 v3, 8, v3
	s_waitcnt vmcnt(1)
	v_or_b32_e32 v3, v4, v3
	v_and_b32_e32 v3, 0xffff, v3
	s_waitcnt vmcnt(0)
	v_lshl_or_b32 v3, v5, 16, v3
	s_branch .LBB17_2
.LBB17_1:                               ;   in Loop: Header=BB17_2 Depth=1
	s_or_b64 exec, exec, s[0:1]
	v_lshrrev_b32_e32 v6, 8, v3
	v_cmp_eq_u16_sdwa s[0:1], v6, v4 src0_sel:BYTE_0 src1_sel:BYTE_0
	s_add_i32 s3, s3, -1
	s_cmp_lg_u32 s3, 0
	v_cndmask_b32_e64 v7, 0, 1, s[0:1]
	v_cmp_eq_u16_sdwa s[0:1], v3, v6 src0_sel:BYTE_0 src1_sel:BYTE_0
	v_add_u16_e32 v4, v4, v7
	v_and_b32_e32 v7, 0xff, v4
	v_cndmask_b32_e64 v8, 0, 1, s[0:1]
	s_waitcnt lgkmcnt(0)
	v_cmp_eq_u16_sdwa s[0:1], v5, v3 src0_sel:BYTE_0 src1_sel:BYTE_0
	v_add_u16_e32 v6, v6, v8
	v_lshlrev_b32_e32 v7, 16, v7
	v_cndmask_b32_e64 v5, 0, 1, s[0:1]
	v_add_u16_e32 v5, v3, v5
	v_lshlrev_b16_e32 v3, 8, v6
	v_or_b32_sdwa v3, v5, v3 dst_sel:DWORD dst_unused:UNUSED_PAD src0_sel:BYTE_0 src1_sel:DWORD
	v_or_b32_sdwa v3, v3, v7 dst_sel:DWORD dst_unused:UNUSED_PAD src0_sel:WORD_0 src1_sel:DWORD
	s_barrier
	s_cbranch_scc0 .LBB17_4
.LBB17_2:                               ; =>This Inner Loop Header: Depth=1
	v_lshrrev_b32_e32 v4, 16, v3
	v_mov_b32_e32 v5, 0x7b
	ds_write_b8 v0, v4
	s_waitcnt lgkmcnt(0)
	s_barrier
	s_and_saveexec_b64 s[0:1], vcc
	s_cbranch_execz .LBB17_1
; %bb.3:                                ;   in Loop: Header=BB17_2 Depth=1
	ds_read_u8 v5, v2
	s_branch .LBB17_1
.LBB17_4:
	s_add_u32 s0, s6, s2
	s_addc_u32 s1, s7, 0
	v_lshl_add_u64 v[0:1], s[0:1], 0, v[0:1]
	global_store_byte v[0:1], v5, off
	global_store_byte v[0:1], v6, off offset:256
	global_store_byte v[0:1], v4, off offset:512
	s_endpgm
	.section	.rodata,"a",@progbits
	.p2align	6, 0x0
	.amdhsa_kernel _Z6kernelI10flag_headsaLj256ELj3ELb1ELj100EEvPKT0_PS1_
		.amdhsa_group_segment_fixed_size 512
		.amdhsa_private_segment_fixed_size 0
		.amdhsa_kernarg_size 16
		.amdhsa_user_sgpr_count 2
		.amdhsa_user_sgpr_dispatch_ptr 0
		.amdhsa_user_sgpr_queue_ptr 0
		.amdhsa_user_sgpr_kernarg_segment_ptr 1
		.amdhsa_user_sgpr_dispatch_id 0
		.amdhsa_user_sgpr_kernarg_preload_length 0
		.amdhsa_user_sgpr_kernarg_preload_offset 0
		.amdhsa_user_sgpr_private_segment_size 0
		.amdhsa_uses_dynamic_stack 0
		.amdhsa_enable_private_segment 0
		.amdhsa_system_sgpr_workgroup_id_x 1
		.amdhsa_system_sgpr_workgroup_id_y 0
		.amdhsa_system_sgpr_workgroup_id_z 0
		.amdhsa_system_sgpr_workgroup_info 0
		.amdhsa_system_vgpr_workitem_id 0
		.amdhsa_next_free_vgpr 9
		.amdhsa_next_free_sgpr 8
		.amdhsa_accum_offset 12
		.amdhsa_reserve_vcc 1
		.amdhsa_float_round_mode_32 0
		.amdhsa_float_round_mode_16_64 0
		.amdhsa_float_denorm_mode_32 3
		.amdhsa_float_denorm_mode_16_64 3
		.amdhsa_dx10_clamp 1
		.amdhsa_ieee_mode 1
		.amdhsa_fp16_overflow 0
		.amdhsa_tg_split 0
		.amdhsa_exception_fp_ieee_invalid_op 0
		.amdhsa_exception_fp_denorm_src 0
		.amdhsa_exception_fp_ieee_div_zero 0
		.amdhsa_exception_fp_ieee_overflow 0
		.amdhsa_exception_fp_ieee_underflow 0
		.amdhsa_exception_fp_ieee_inexact 0
		.amdhsa_exception_int_div_zero 0
	.end_amdhsa_kernel
	.section	.text._Z6kernelI10flag_headsaLj256ELj3ELb1ELj100EEvPKT0_PS1_,"axG",@progbits,_Z6kernelI10flag_headsaLj256ELj3ELb1ELj100EEvPKT0_PS1_,comdat
.Lfunc_end17:
	.size	_Z6kernelI10flag_headsaLj256ELj3ELb1ELj100EEvPKT0_PS1_, .Lfunc_end17-_Z6kernelI10flag_headsaLj256ELj3ELb1ELj100EEvPKT0_PS1_
                                        ; -- End function
	.section	.AMDGPU.csdata,"",@progbits
; Kernel info:
; codeLenInByte = 316
; NumSgprs: 14
; NumVgprs: 9
; NumAgprs: 0
; TotalNumVgprs: 9
; ScratchSize: 0
; MemoryBound: 0
; FloatMode: 240
; IeeeMode: 1
; LDSByteSize: 512 bytes/workgroup (compile time only)
; SGPRBlocks: 1
; VGPRBlocks: 1
; NumSGPRsForWavesPerEU: 14
; NumVGPRsForWavesPerEU: 9
; AccumOffset: 12
; Occupancy: 8
; WaveLimiterHint : 1
; COMPUTE_PGM_RSRC2:SCRATCH_EN: 0
; COMPUTE_PGM_RSRC2:USER_SGPR: 2
; COMPUTE_PGM_RSRC2:TRAP_HANDLER: 0
; COMPUTE_PGM_RSRC2:TGID_X_EN: 1
; COMPUTE_PGM_RSRC2:TGID_Y_EN: 0
; COMPUTE_PGM_RSRC2:TGID_Z_EN: 0
; COMPUTE_PGM_RSRC2:TIDIG_COMP_CNT: 0
; COMPUTE_PGM_RSRC3_GFX90A:ACCUM_OFFSET: 2
; COMPUTE_PGM_RSRC3_GFX90A:TG_SPLIT: 0
	.section	.text._Z6kernelI10flag_headsaLj256ELj4ELb1ELj100EEvPKT0_PS1_,"axG",@progbits,_Z6kernelI10flag_headsaLj256ELj4ELb1ELj100EEvPKT0_PS1_,comdat
	.protected	_Z6kernelI10flag_headsaLj256ELj4ELb1ELj100EEvPKT0_PS1_ ; -- Begin function _Z6kernelI10flag_headsaLj256ELj4ELb1ELj100EEvPKT0_PS1_
	.globl	_Z6kernelI10flag_headsaLj256ELj4ELb1ELj100EEvPKT0_PS1_
	.p2align	8
	.type	_Z6kernelI10flag_headsaLj256ELj4ELb1ELj100EEvPKT0_PS1_,@function
_Z6kernelI10flag_headsaLj256ELj4ELb1ELj100EEvPKT0_PS1_: ; @_Z6kernelI10flag_headsaLj256ELj4ELb1ELj100EEvPKT0_PS1_
; %bb.0:
	s_load_dwordx4 s[4:7], s[0:1], 0x0
	s_lshl_b32 s2, s2, 10
	v_mov_b32_e32 v1, 0
	s_movk_i32 s3, 0x64
	v_cmp_ne_u32_e32 vcc, 0, v0
	s_waitcnt lgkmcnt(0)
	s_add_u32 s0, s4, s2
	s_addc_u32 s1, s5, 0
	global_load_ubyte v3, v0, s[0:1] offset:256
	global_load_ubyte v4, v0, s[0:1] offset:768
	global_load_ubyte v5, v0, s[0:1]
	global_load_ubyte v6, v0, s[0:1] offset:512
	v_add_u32_e32 v2, -1, v0
	s_movk_i32 s4, 0xff
	s_waitcnt vmcnt(3)
	v_lshlrev_b16_e32 v3, 8, v3
	s_waitcnt vmcnt(2)
	v_lshlrev_b16_e32 v4, 8, v4
	s_waitcnt vmcnt(1)
	v_or_b32_e32 v3, v5, v3
	s_waitcnt vmcnt(0)
	v_or_b32_sdwa v4, v6, v4 dst_sel:WORD_1 dst_unused:UNUSED_PAD src0_sel:DWORD src1_sel:DWORD
	s_nop 0
	v_or_b32_sdwa v3, v3, v4 dst_sel:DWORD dst_unused:UNUSED_PAD src0_sel:WORD_0 src1_sel:DWORD
	s_branch .LBB18_2
.LBB18_1:                               ;   in Loop: Header=BB18_2 Depth=1
	s_or_b64 exec, exec, s[0:1]
	v_and_b32_sdwa v6, v3, s4 dst_sel:DWORD dst_unused:UNUSED_PAD src0_sel:WORD_1 src1_sel:DWORD
	v_cmp_eq_u16_e64 s[0:1], v6, v4
	v_lshrrev_b32_e32 v7, 8, v3
	s_add_i32 s3, s3, -1
	v_cndmask_b32_e64 v8, 0, 1, s[0:1]
	v_cmp_eq_u16_sdwa s[0:1], v7, v6 src0_sel:BYTE_0 src1_sel:DWORD
	v_add_u16_e32 v4, v4, v8
	v_lshlrev_b16_e32 v8, 8, v4
	v_cndmask_b32_e64 v9, 0, 1, s[0:1]
	v_cmp_eq_u16_sdwa s[0:1], v3, v7 src0_sel:BYTE_0 src1_sel:BYTE_0
	s_cmp_lg_u32 s3, 0
	s_waitcnt lgkmcnt(0)
	v_cndmask_b32_e64 v6, 0, 1, s[0:1]
	v_cmp_eq_u16_sdwa s[0:1], v5, v3 src0_sel:BYTE_0 src1_sel:BYTE_0
	v_add_u16_e32 v6, v7, v6
	v_add_u16_sdwa v7, v3, v9 dst_sel:DWORD dst_unused:UNUSED_PAD src0_sel:WORD_1 src1_sel:DWORD
	v_cndmask_b32_e64 v5, 0, 1, s[0:1]
	v_add_u16_e32 v5, v3, v5
	v_lshlrev_b16_e32 v3, 8, v6
	v_or_b32_sdwa v3, v5, v3 dst_sel:DWORD dst_unused:UNUSED_PAD src0_sel:BYTE_0 src1_sel:DWORD
	v_or_b32_sdwa v8, v7, v8 dst_sel:WORD_1 dst_unused:UNUSED_PAD src0_sel:BYTE_0 src1_sel:DWORD
	s_barrier
	v_or_b32_sdwa v3, v3, v8 dst_sel:DWORD dst_unused:UNUSED_PAD src0_sel:WORD_0 src1_sel:DWORD
	s_cbranch_scc0 .LBB18_4
.LBB18_2:                               ; =>This Inner Loop Header: Depth=1
	v_lshrrev_b32_e32 v4, 24, v3
	v_mov_b32_e32 v5, 0x7b
	ds_write_b8 v0, v4
	s_waitcnt lgkmcnt(0)
	s_barrier
	s_and_saveexec_b64 s[0:1], vcc
	s_cbranch_execz .LBB18_1
; %bb.3:                                ;   in Loop: Header=BB18_2 Depth=1
	ds_read_u8 v5, v2
	s_branch .LBB18_1
.LBB18_4:
	s_add_u32 s0, s6, s2
	s_addc_u32 s1, s7, 0
	v_lshl_add_u64 v[0:1], s[0:1], 0, v[0:1]
	global_store_byte v[0:1], v5, off
	global_store_byte v[0:1], v6, off offset:256
	global_store_byte v[0:1], v7, off offset:512
	;; [unrolled: 1-line block ×3, first 2 shown]
	s_endpgm
	.section	.rodata,"a",@progbits
	.p2align	6, 0x0
	.amdhsa_kernel _Z6kernelI10flag_headsaLj256ELj4ELb1ELj100EEvPKT0_PS1_
		.amdhsa_group_segment_fixed_size 512
		.amdhsa_private_segment_fixed_size 0
		.amdhsa_kernarg_size 16
		.amdhsa_user_sgpr_count 2
		.amdhsa_user_sgpr_dispatch_ptr 0
		.amdhsa_user_sgpr_queue_ptr 0
		.amdhsa_user_sgpr_kernarg_segment_ptr 1
		.amdhsa_user_sgpr_dispatch_id 0
		.amdhsa_user_sgpr_kernarg_preload_length 0
		.amdhsa_user_sgpr_kernarg_preload_offset 0
		.amdhsa_user_sgpr_private_segment_size 0
		.amdhsa_uses_dynamic_stack 0
		.amdhsa_enable_private_segment 0
		.amdhsa_system_sgpr_workgroup_id_x 1
		.amdhsa_system_sgpr_workgroup_id_y 0
		.amdhsa_system_sgpr_workgroup_id_z 0
		.amdhsa_system_sgpr_workgroup_info 0
		.amdhsa_system_vgpr_workitem_id 0
		.amdhsa_next_free_vgpr 10
		.amdhsa_next_free_sgpr 8
		.amdhsa_accum_offset 12
		.amdhsa_reserve_vcc 1
		.amdhsa_float_round_mode_32 0
		.amdhsa_float_round_mode_16_64 0
		.amdhsa_float_denorm_mode_32 3
		.amdhsa_float_denorm_mode_16_64 3
		.amdhsa_dx10_clamp 1
		.amdhsa_ieee_mode 1
		.amdhsa_fp16_overflow 0
		.amdhsa_tg_split 0
		.amdhsa_exception_fp_ieee_invalid_op 0
		.amdhsa_exception_fp_denorm_src 0
		.amdhsa_exception_fp_ieee_div_zero 0
		.amdhsa_exception_fp_ieee_overflow 0
		.amdhsa_exception_fp_ieee_underflow 0
		.amdhsa_exception_fp_ieee_inexact 0
		.amdhsa_exception_int_div_zero 0
	.end_amdhsa_kernel
	.section	.text._Z6kernelI10flag_headsaLj256ELj4ELb1ELj100EEvPKT0_PS1_,"axG",@progbits,_Z6kernelI10flag_headsaLj256ELj4ELb1ELj100EEvPKT0_PS1_,comdat
.Lfunc_end18:
	.size	_Z6kernelI10flag_headsaLj256ELj4ELb1ELj100EEvPKT0_PS1_, .Lfunc_end18-_Z6kernelI10flag_headsaLj256ELj4ELb1ELj100EEvPKT0_PS1_
                                        ; -- End function
	.section	.AMDGPU.csdata,"",@progbits
; Kernel info:
; codeLenInByte = 380
; NumSgprs: 14
; NumVgprs: 10
; NumAgprs: 0
; TotalNumVgprs: 10
; ScratchSize: 0
; MemoryBound: 0
; FloatMode: 240
; IeeeMode: 1
; LDSByteSize: 512 bytes/workgroup (compile time only)
; SGPRBlocks: 1
; VGPRBlocks: 1
; NumSGPRsForWavesPerEU: 14
; NumVGPRsForWavesPerEU: 10
; AccumOffset: 12
; Occupancy: 8
; WaveLimiterHint : 1
; COMPUTE_PGM_RSRC2:SCRATCH_EN: 0
; COMPUTE_PGM_RSRC2:USER_SGPR: 2
; COMPUTE_PGM_RSRC2:TRAP_HANDLER: 0
; COMPUTE_PGM_RSRC2:TGID_X_EN: 1
; COMPUTE_PGM_RSRC2:TGID_Y_EN: 0
; COMPUTE_PGM_RSRC2:TGID_Z_EN: 0
; COMPUTE_PGM_RSRC2:TIDIG_COMP_CNT: 0
; COMPUTE_PGM_RSRC3_GFX90A:ACCUM_OFFSET: 2
; COMPUTE_PGM_RSRC3_GFX90A:TG_SPLIT: 0
	.section	.text._Z6kernelI10flag_headsaLj256ELj8ELb1ELj100EEvPKT0_PS1_,"axG",@progbits,_Z6kernelI10flag_headsaLj256ELj8ELb1ELj100EEvPKT0_PS1_,comdat
	.protected	_Z6kernelI10flag_headsaLj256ELj8ELb1ELj100EEvPKT0_PS1_ ; -- Begin function _Z6kernelI10flag_headsaLj256ELj8ELb1ELj100EEvPKT0_PS1_
	.globl	_Z6kernelI10flag_headsaLj256ELj8ELb1ELj100EEvPKT0_PS1_
	.p2align	8
	.type	_Z6kernelI10flag_headsaLj256ELj8ELb1ELj100EEvPKT0_PS1_,@function
_Z6kernelI10flag_headsaLj256ELj8ELb1ELj100EEvPKT0_PS1_: ; @_Z6kernelI10flag_headsaLj256ELj8ELb1ELj100EEvPKT0_PS1_
; %bb.0:
	s_load_dwordx4 s[4:7], s[0:1], 0x0
	s_lshl_b32 s2, s2, 11
	v_mov_b32_e32 v1, 0
	s_movk_i32 s3, 0x64
	v_cmp_ne_u32_e32 vcc, 0, v0
	s_waitcnt lgkmcnt(0)
	s_add_u32 s0, s4, s2
	s_addc_u32 s1, s5, 0
	global_load_ubyte v2, v0, s[0:1] offset:256
	global_load_ubyte v3, v0, s[0:1] offset:768
	;; [unrolled: 1-line block ×4, first 2 shown]
	global_load_ubyte v7, v0, s[0:1]
	global_load_ubyte v8, v0, s[0:1] offset:512
	global_load_ubyte v9, v0, s[0:1] offset:1024
	;; [unrolled: 1-line block ×3, first 2 shown]
	v_add_u32_e32 v4, -1, v0
	s_movk_i32 s4, 0xff
	s_waitcnt vmcnt(7)
	v_lshlrev_b16_e32 v2, 8, v2
	s_waitcnt vmcnt(6)
	v_lshlrev_b16_e32 v3, 8, v3
	;; [unrolled: 2-line block ×4, first 2 shown]
	s_waitcnt vmcnt(3)
	v_or_b32_e32 v2, v7, v2
	s_waitcnt vmcnt(2)
	v_or_b32_sdwa v3, v8, v3 dst_sel:WORD_1 dst_unused:UNUSED_PAD src0_sel:DWORD src1_sel:DWORD
	s_waitcnt vmcnt(1)
	v_or_b32_e32 v5, v9, v5
	s_waitcnt vmcnt(0)
	v_or_b32_sdwa v6, v10, v6 dst_sel:WORD_1 dst_unused:UNUSED_PAD src0_sel:DWORD src1_sel:DWORD
	v_or_b32_sdwa v2, v2, v3 dst_sel:DWORD dst_unused:UNUSED_PAD src0_sel:WORD_0 src1_sel:DWORD
	v_or_b32_sdwa v3, v5, v6 dst_sel:DWORD dst_unused:UNUSED_PAD src0_sel:WORD_0 src1_sel:DWORD
	s_branch .LBB19_2
.LBB19_1:                               ;   in Loop: Header=BB19_2 Depth=1
	s_or_b64 exec, exec, s[0:1]
	v_and_b32_sdwa v7, v3, s4 dst_sel:DWORD dst_unused:UNUSED_PAD src0_sel:WORD_1 src1_sel:DWORD
	v_cmp_eq_u16_e64 s[0:1], v7, v5
	v_lshrrev_b32_e32 v12, 8, v3
	v_lshrrev_b64 v[10:11], 24, v[2:3]
	v_cndmask_b32_e64 v13, 0, 1, s[0:1]
	v_cmp_eq_u16_sdwa s[0:1], v12, v7 src0_sel:BYTE_0 src1_sel:DWORD
	v_and_b32_sdwa v7, v2, s4 dst_sel:DWORD dst_unused:UNUSED_PAD src0_sel:WORD_1 src1_sel:DWORD
	v_lshrrev_b32_e32 v8, 8, v2
	v_cndmask_b32_e64 v14, 0, 1, s[0:1]
	v_cmp_eq_u16_sdwa s[0:1], v3, v12 src0_sel:BYTE_0 src1_sel:BYTE_0
	v_add_u16_e32 v5, v5, v13
	v_lshlrev_b16_e32 v13, 8, v5
	v_cndmask_b32_e64 v15, 0, 1, s[0:1]
	v_cmp_eq_u16_sdwa s[0:1], v10, v3 src0_sel:BYTE_0 src1_sel:BYTE_0
	s_add_i32 s3, s3, -1
	s_cmp_lg_u32 s3, 0
	v_cndmask_b32_e64 v11, 0, 1, s[0:1]
	v_cmp_eq_u16_sdwa s[0:1], v7, v10 src0_sel:DWORD src1_sel:BYTE_0
	s_waitcnt lgkmcnt(0)
	s_barrier
	v_cndmask_b32_e64 v9, 0, 1, s[0:1]
	v_cmp_eq_u16_sdwa s[0:1], v8, v7 src0_sel:BYTE_0 src1_sel:DWORD
	v_add_u16_e32 v9, v10, v9
	v_add_u16_e32 v10, v3, v11
	v_cndmask_b32_e64 v16, 0, 1, s[0:1]
	v_cmp_eq_u16_sdwa s[0:1], v2, v8 src0_sel:BYTE_0 src1_sel:BYTE_0
	v_add_u16_e32 v11, v12, v15
	v_add_u16_sdwa v12, v3, v14 dst_sel:DWORD dst_unused:UNUSED_PAD src0_sel:WORD_1 src1_sel:DWORD
	v_cndmask_b32_e64 v7, 0, 1, s[0:1]
	v_cmp_eq_u16_sdwa s[0:1], v6, v2 src0_sel:BYTE_0 src1_sel:BYTE_0
	v_add_u16_e32 v7, v8, v7
	v_add_u16_sdwa v8, v2, v16 dst_sel:DWORD dst_unused:UNUSED_PAD src0_sel:WORD_1 src1_sel:DWORD
	v_cndmask_b32_e64 v6, 0, 1, s[0:1]
	v_add_u16_e32 v6, v2, v6
	v_lshlrev_b16_e32 v2, 8, v7
	v_lshlrev_b16_e32 v3, 8, v9
	v_or_b32_sdwa v2, v6, v2 dst_sel:DWORD dst_unused:UNUSED_PAD src0_sel:BYTE_0 src1_sel:DWORD
	v_or_b32_sdwa v3, v8, v3 dst_sel:WORD_1 dst_unused:UNUSED_PAD src0_sel:BYTE_0 src1_sel:DWORD
	v_or_b32_sdwa v13, v12, v13 dst_sel:WORD_1 dst_unused:UNUSED_PAD src0_sel:BYTE_0 src1_sel:DWORD
	v_or_b32_sdwa v2, v2, v3 dst_sel:DWORD dst_unused:UNUSED_PAD src0_sel:WORD_0 src1_sel:DWORD
	v_lshlrev_b16_e32 v3, 8, v11
	v_or_b32_sdwa v3, v10, v3 dst_sel:DWORD dst_unused:UNUSED_PAD src0_sel:BYTE_0 src1_sel:DWORD
	v_or_b32_sdwa v3, v3, v13 dst_sel:DWORD dst_unused:UNUSED_PAD src0_sel:WORD_0 src1_sel:DWORD
	s_cbranch_scc0 .LBB19_4
.LBB19_2:                               ; =>This Inner Loop Header: Depth=1
	v_lshrrev_b32_e32 v5, 24, v3
	v_mov_b32_e32 v6, 0x7b
	ds_write_b8 v0, v5
	s_waitcnt lgkmcnt(0)
	s_barrier
	s_and_saveexec_b64 s[0:1], vcc
	s_cbranch_execz .LBB19_1
; %bb.3:                                ;   in Loop: Header=BB19_2 Depth=1
	ds_read_u8 v6, v4
	s_branch .LBB19_1
.LBB19_4:
	s_add_u32 s0, s6, s2
	s_addc_u32 s1, s7, 0
	v_lshl_add_u64 v[0:1], s[0:1], 0, v[0:1]
	global_store_byte v[0:1], v6, off
	global_store_byte v[0:1], v7, off offset:256
	global_store_byte v[0:1], v8, off offset:512
	global_store_byte v[0:1], v9, off offset:768
	global_store_byte v[0:1], v10, off offset:1024
	global_store_byte v[0:1], v11, off offset:1280
	global_store_byte v[0:1], v12, off offset:1536
	global_store_byte v[0:1], v5, off offset:1792
	s_endpgm
	.section	.rodata,"a",@progbits
	.p2align	6, 0x0
	.amdhsa_kernel _Z6kernelI10flag_headsaLj256ELj8ELb1ELj100EEvPKT0_PS1_
		.amdhsa_group_segment_fixed_size 512
		.amdhsa_private_segment_fixed_size 0
		.amdhsa_kernarg_size 16
		.amdhsa_user_sgpr_count 2
		.amdhsa_user_sgpr_dispatch_ptr 0
		.amdhsa_user_sgpr_queue_ptr 0
		.amdhsa_user_sgpr_kernarg_segment_ptr 1
		.amdhsa_user_sgpr_dispatch_id 0
		.amdhsa_user_sgpr_kernarg_preload_length 0
		.amdhsa_user_sgpr_kernarg_preload_offset 0
		.amdhsa_user_sgpr_private_segment_size 0
		.amdhsa_uses_dynamic_stack 0
		.amdhsa_enable_private_segment 0
		.amdhsa_system_sgpr_workgroup_id_x 1
		.amdhsa_system_sgpr_workgroup_id_y 0
		.amdhsa_system_sgpr_workgroup_id_z 0
		.amdhsa_system_sgpr_workgroup_info 0
		.amdhsa_system_vgpr_workitem_id 0
		.amdhsa_next_free_vgpr 17
		.amdhsa_next_free_sgpr 8
		.amdhsa_accum_offset 20
		.amdhsa_reserve_vcc 1
		.amdhsa_float_round_mode_32 0
		.amdhsa_float_round_mode_16_64 0
		.amdhsa_float_denorm_mode_32 3
		.amdhsa_float_denorm_mode_16_64 3
		.amdhsa_dx10_clamp 1
		.amdhsa_ieee_mode 1
		.amdhsa_fp16_overflow 0
		.amdhsa_tg_split 0
		.amdhsa_exception_fp_ieee_invalid_op 0
		.amdhsa_exception_fp_denorm_src 0
		.amdhsa_exception_fp_ieee_div_zero 0
		.amdhsa_exception_fp_ieee_overflow 0
		.amdhsa_exception_fp_ieee_underflow 0
		.amdhsa_exception_fp_ieee_inexact 0
		.amdhsa_exception_int_div_zero 0
	.end_amdhsa_kernel
	.section	.text._Z6kernelI10flag_headsaLj256ELj8ELb1ELj100EEvPKT0_PS1_,"axG",@progbits,_Z6kernelI10flag_headsaLj256ELj8ELb1ELj100EEvPKT0_PS1_,comdat
.Lfunc_end19:
	.size	_Z6kernelI10flag_headsaLj256ELj8ELb1ELj100EEvPKT0_PS1_, .Lfunc_end19-_Z6kernelI10flag_headsaLj256ELj8ELb1ELj100EEvPKT0_PS1_
                                        ; -- End function
	.section	.AMDGPU.csdata,"",@progbits
; Kernel info:
; codeLenInByte = 620
; NumSgprs: 14
; NumVgprs: 17
; NumAgprs: 0
; TotalNumVgprs: 17
; ScratchSize: 0
; MemoryBound: 0
; FloatMode: 240
; IeeeMode: 1
; LDSByteSize: 512 bytes/workgroup (compile time only)
; SGPRBlocks: 1
; VGPRBlocks: 2
; NumSGPRsForWavesPerEU: 14
; NumVGPRsForWavesPerEU: 17
; AccumOffset: 20
; Occupancy: 8
; WaveLimiterHint : 1
; COMPUTE_PGM_RSRC2:SCRATCH_EN: 0
; COMPUTE_PGM_RSRC2:USER_SGPR: 2
; COMPUTE_PGM_RSRC2:TRAP_HANDLER: 0
; COMPUTE_PGM_RSRC2:TGID_X_EN: 1
; COMPUTE_PGM_RSRC2:TGID_Y_EN: 0
; COMPUTE_PGM_RSRC2:TGID_Z_EN: 0
; COMPUTE_PGM_RSRC2:TIDIG_COMP_CNT: 0
; COMPUTE_PGM_RSRC3_GFX90A:ACCUM_OFFSET: 4
; COMPUTE_PGM_RSRC3_GFX90A:TG_SPLIT: 0
	.section	.text._Z6kernelI10flag_headshLj256ELj1ELb0ELj100EEvPKT0_PS1_,"axG",@progbits,_Z6kernelI10flag_headshLj256ELj1ELb0ELj100EEvPKT0_PS1_,comdat
	.protected	_Z6kernelI10flag_headshLj256ELj1ELb0ELj100EEvPKT0_PS1_ ; -- Begin function _Z6kernelI10flag_headshLj256ELj1ELb0ELj100EEvPKT0_PS1_
	.globl	_Z6kernelI10flag_headshLj256ELj1ELb0ELj100EEvPKT0_PS1_
	.p2align	8
	.type	_Z6kernelI10flag_headshLj256ELj1ELb0ELj100EEvPKT0_PS1_,@function
_Z6kernelI10flag_headshLj256ELj1ELb0ELj100EEvPKT0_PS1_: ; @_Z6kernelI10flag_headshLj256ELj1ELb0ELj100EEvPKT0_PS1_
; %bb.0:
	s_load_dwordx4 s[4:7], s[0:1], 0x0
	s_lshl_b32 s2, s2, 8
	v_mov_b32_e32 v1, 0
	v_cmp_ne_u32_e32 vcc, 0, v0
	v_add_u32_e32 v3, -1, v0
	s_waitcnt lgkmcnt(0)
	s_add_u32 s0, s4, s2
	s_addc_u32 s1, s5, 0
	global_load_ubyte v2, v0, s[0:1]
	s_movk_i32 s3, 0x64
	s_branch .LBB20_2
.LBB20_1:                               ;   in Loop: Header=BB20_2 Depth=1
	s_or_b64 exec, exec, s[0:1]
	s_add_i32 s3, s3, -1
	v_add_u16_e32 v2, v4, v2
	s_cmp_lg_u32 s3, 0
	s_barrier
	s_cbranch_scc0 .LBB20_4
.LBB20_2:                               ; =>This Inner Loop Header: Depth=1
	v_mov_b32_e32 v4, 1
	s_waitcnt vmcnt(0)
	ds_write_b8 v0, v2
	s_waitcnt lgkmcnt(0)
	s_barrier
	s_and_saveexec_b64 s[0:1], vcc
	s_cbranch_execz .LBB20_1
; %bb.3:                                ;   in Loop: Header=BB20_2 Depth=1
	ds_read_u8 v4, v3
	s_waitcnt lgkmcnt(0)
	v_cmp_eq_u16_sdwa s[4:5], v4, v2 src0_sel:DWORD src1_sel:BYTE_0
	s_nop 1
	v_cndmask_b32_e64 v4, 0, 1, s[4:5]
	s_branch .LBB20_1
.LBB20_4:
	s_add_u32 s0, s6, s2
	s_addc_u32 s1, s7, 0
	v_lshl_add_u64 v[0:1], s[0:1], 0, v[0:1]
	global_store_byte v[0:1], v2, off
	s_endpgm
	.section	.rodata,"a",@progbits
	.p2align	6, 0x0
	.amdhsa_kernel _Z6kernelI10flag_headshLj256ELj1ELb0ELj100EEvPKT0_PS1_
		.amdhsa_group_segment_fixed_size 512
		.amdhsa_private_segment_fixed_size 0
		.amdhsa_kernarg_size 16
		.amdhsa_user_sgpr_count 2
		.amdhsa_user_sgpr_dispatch_ptr 0
		.amdhsa_user_sgpr_queue_ptr 0
		.amdhsa_user_sgpr_kernarg_segment_ptr 1
		.amdhsa_user_sgpr_dispatch_id 0
		.amdhsa_user_sgpr_kernarg_preload_length 0
		.amdhsa_user_sgpr_kernarg_preload_offset 0
		.amdhsa_user_sgpr_private_segment_size 0
		.amdhsa_uses_dynamic_stack 0
		.amdhsa_enable_private_segment 0
		.amdhsa_system_sgpr_workgroup_id_x 1
		.amdhsa_system_sgpr_workgroup_id_y 0
		.amdhsa_system_sgpr_workgroup_id_z 0
		.amdhsa_system_sgpr_workgroup_info 0
		.amdhsa_system_vgpr_workitem_id 0
		.amdhsa_next_free_vgpr 5
		.amdhsa_next_free_sgpr 8
		.amdhsa_accum_offset 8
		.amdhsa_reserve_vcc 1
		.amdhsa_float_round_mode_32 0
		.amdhsa_float_round_mode_16_64 0
		.amdhsa_float_denorm_mode_32 3
		.amdhsa_float_denorm_mode_16_64 3
		.amdhsa_dx10_clamp 1
		.amdhsa_ieee_mode 1
		.amdhsa_fp16_overflow 0
		.amdhsa_tg_split 0
		.amdhsa_exception_fp_ieee_invalid_op 0
		.amdhsa_exception_fp_denorm_src 0
		.amdhsa_exception_fp_ieee_div_zero 0
		.amdhsa_exception_fp_ieee_overflow 0
		.amdhsa_exception_fp_ieee_underflow 0
		.amdhsa_exception_fp_ieee_inexact 0
		.amdhsa_exception_int_div_zero 0
	.end_amdhsa_kernel
	.section	.text._Z6kernelI10flag_headshLj256ELj1ELb0ELj100EEvPKT0_PS1_,"axG",@progbits,_Z6kernelI10flag_headshLj256ELj1ELb0ELj100EEvPKT0_PS1_,comdat
.Lfunc_end20:
	.size	_Z6kernelI10flag_headshLj256ELj1ELb0ELj100EEvPKT0_PS1_, .Lfunc_end20-_Z6kernelI10flag_headshLj256ELj1ELb0ELj100EEvPKT0_PS1_
                                        ; -- End function
	.section	.AMDGPU.csdata,"",@progbits
; Kernel info:
; codeLenInByte = 172
; NumSgprs: 14
; NumVgprs: 5
; NumAgprs: 0
; TotalNumVgprs: 5
; ScratchSize: 0
; MemoryBound: 0
; FloatMode: 240
; IeeeMode: 1
; LDSByteSize: 512 bytes/workgroup (compile time only)
; SGPRBlocks: 1
; VGPRBlocks: 0
; NumSGPRsForWavesPerEU: 14
; NumVGPRsForWavesPerEU: 5
; AccumOffset: 8
; Occupancy: 8
; WaveLimiterHint : 0
; COMPUTE_PGM_RSRC2:SCRATCH_EN: 0
; COMPUTE_PGM_RSRC2:USER_SGPR: 2
; COMPUTE_PGM_RSRC2:TRAP_HANDLER: 0
; COMPUTE_PGM_RSRC2:TGID_X_EN: 1
; COMPUTE_PGM_RSRC2:TGID_Y_EN: 0
; COMPUTE_PGM_RSRC2:TGID_Z_EN: 0
; COMPUTE_PGM_RSRC2:TIDIG_COMP_CNT: 0
; COMPUTE_PGM_RSRC3_GFX90A:ACCUM_OFFSET: 1
; COMPUTE_PGM_RSRC3_GFX90A:TG_SPLIT: 0
	.section	.text._Z6kernelI10flag_headshLj256ELj2ELb0ELj100EEvPKT0_PS1_,"axG",@progbits,_Z6kernelI10flag_headshLj256ELj2ELb0ELj100EEvPKT0_PS1_,comdat
	.protected	_Z6kernelI10flag_headshLj256ELj2ELb0ELj100EEvPKT0_PS1_ ; -- Begin function _Z6kernelI10flag_headshLj256ELj2ELb0ELj100EEvPKT0_PS1_
	.globl	_Z6kernelI10flag_headshLj256ELj2ELb0ELj100EEvPKT0_PS1_
	.p2align	8
	.type	_Z6kernelI10flag_headshLj256ELj2ELb0ELj100EEvPKT0_PS1_,@function
_Z6kernelI10flag_headshLj256ELj2ELb0ELj100EEvPKT0_PS1_: ; @_Z6kernelI10flag_headshLj256ELj2ELb0ELj100EEvPKT0_PS1_
; %bb.0:
	s_load_dwordx4 s[4:7], s[0:1], 0x0
	s_lshl_b32 s2, s2, 9
	v_mov_b32_e32 v1, 0
	v_cmp_ne_u32_e32 vcc, 0, v0
	v_add_u32_e32 v2, -1, v0
	s_waitcnt lgkmcnt(0)
	s_add_u32 s0, s4, s2
	s_addc_u32 s1, s5, 0
	global_load_ubyte v3, v0, s[0:1] offset:256
	global_load_ubyte v4, v0, s[0:1]
	s_movk_i32 s3, 0x64
	s_waitcnt vmcnt(1)
	v_lshlrev_b16_e32 v3, 8, v3
	s_waitcnt vmcnt(0)
	v_or_b32_e32 v3, v4, v3
	v_and_b32_e32 v3, 0xffff, v3
	s_branch .LBB21_2
.LBB21_1:                               ;   in Loop: Header=BB21_2 Depth=1
	s_or_b64 exec, exec, s[0:1]
	v_add_u16_sdwa v4, v6, v4 dst_sel:DWORD dst_unused:UNUSED_PAD src0_sel:BYTE_1 src1_sel:DWORD
	v_add_u16_e32 v5, v6, v3
	v_lshlrev_b16_e32 v3, 8, v4
	v_or_b32_sdwa v3, v5, v3 dst_sel:DWORD dst_unused:UNUSED_PAD src0_sel:BYTE_0 src1_sel:DWORD
	s_add_i32 s3, s3, -1
	v_and_b32_e32 v3, 0xffff, v3
	s_cmp_lg_u32 s3, 0
	s_barrier
	s_cbranch_scc0 .LBB21_4
.LBB21_2:                               ; =>This Inner Loop Header: Depth=1
	v_lshrrev_b16_e32 v4, 8, v3
	v_cmp_eq_u16_sdwa s[0:1], v3, v4 src0_sel:BYTE_0 src1_sel:DWORD
	ds_write_b8 v0, v4
	s_waitcnt lgkmcnt(0)
	v_cndmask_b32_e64 v5, 0, 1, s[0:1]
	v_lshlrev_b16_e32 v5, 8, v5
	v_or_b32_e32 v5, 1, v5
	v_and_b32_e32 v6, 0xffff, v5
	s_barrier
	s_and_saveexec_b64 s[0:1], vcc
	s_cbranch_execz .LBB21_1
; %bb.3:                                ;   in Loop: Header=BB21_2 Depth=1
	ds_read_u8 v5, v2
	v_and_b32_e32 v6, 0x100, v6
	s_waitcnt lgkmcnt(0)
	v_cmp_eq_u16_sdwa s[4:5], v5, v3 src0_sel:DWORD src1_sel:BYTE_0
	s_nop 1
	v_cndmask_b32_e64 v5, 0, 1, s[4:5]
	v_or_b32_e32 v5, v5, v6
	v_and_b32_e32 v6, 0xffff, v5
	s_branch .LBB21_1
.LBB21_4:
	s_add_u32 s0, s6, s2
	s_addc_u32 s1, s7, 0
	v_lshl_add_u64 v[0:1], s[0:1], 0, v[0:1]
	global_store_byte v[0:1], v5, off
	global_store_byte v[0:1], v4, off offset:256
	s_endpgm
	.section	.rodata,"a",@progbits
	.p2align	6, 0x0
	.amdhsa_kernel _Z6kernelI10flag_headshLj256ELj2ELb0ELj100EEvPKT0_PS1_
		.amdhsa_group_segment_fixed_size 512
		.amdhsa_private_segment_fixed_size 0
		.amdhsa_kernarg_size 16
		.amdhsa_user_sgpr_count 2
		.amdhsa_user_sgpr_dispatch_ptr 0
		.amdhsa_user_sgpr_queue_ptr 0
		.amdhsa_user_sgpr_kernarg_segment_ptr 1
		.amdhsa_user_sgpr_dispatch_id 0
		.amdhsa_user_sgpr_kernarg_preload_length 0
		.amdhsa_user_sgpr_kernarg_preload_offset 0
		.amdhsa_user_sgpr_private_segment_size 0
		.amdhsa_uses_dynamic_stack 0
		.amdhsa_enable_private_segment 0
		.amdhsa_system_sgpr_workgroup_id_x 1
		.amdhsa_system_sgpr_workgroup_id_y 0
		.amdhsa_system_sgpr_workgroup_id_z 0
		.amdhsa_system_sgpr_workgroup_info 0
		.amdhsa_system_vgpr_workitem_id 0
		.amdhsa_next_free_vgpr 7
		.amdhsa_next_free_sgpr 8
		.amdhsa_accum_offset 8
		.amdhsa_reserve_vcc 1
		.amdhsa_float_round_mode_32 0
		.amdhsa_float_round_mode_16_64 0
		.amdhsa_float_denorm_mode_32 3
		.amdhsa_float_denorm_mode_16_64 3
		.amdhsa_dx10_clamp 1
		.amdhsa_ieee_mode 1
		.amdhsa_fp16_overflow 0
		.amdhsa_tg_split 0
		.amdhsa_exception_fp_ieee_invalid_op 0
		.amdhsa_exception_fp_denorm_src 0
		.amdhsa_exception_fp_ieee_div_zero 0
		.amdhsa_exception_fp_ieee_overflow 0
		.amdhsa_exception_fp_ieee_underflow 0
		.amdhsa_exception_fp_ieee_inexact 0
		.amdhsa_exception_int_div_zero 0
	.end_amdhsa_kernel
	.section	.text._Z6kernelI10flag_headshLj256ELj2ELb0ELj100EEvPKT0_PS1_,"axG",@progbits,_Z6kernelI10flag_headshLj256ELj2ELb0ELj100EEvPKT0_PS1_,comdat
.Lfunc_end21:
	.size	_Z6kernelI10flag_headshLj256ELj2ELb0ELj100EEvPKT0_PS1_, .Lfunc_end21-_Z6kernelI10flag_headshLj256ELj2ELb0ELj100EEvPKT0_PS1_
                                        ; -- End function
	.section	.AMDGPU.csdata,"",@progbits
; Kernel info:
; codeLenInByte = 288
; NumSgprs: 14
; NumVgprs: 7
; NumAgprs: 0
; TotalNumVgprs: 7
; ScratchSize: 0
; MemoryBound: 0
; FloatMode: 240
; IeeeMode: 1
; LDSByteSize: 512 bytes/workgroup (compile time only)
; SGPRBlocks: 1
; VGPRBlocks: 0
; NumSGPRsForWavesPerEU: 14
; NumVGPRsForWavesPerEU: 7
; AccumOffset: 8
; Occupancy: 8
; WaveLimiterHint : 1
; COMPUTE_PGM_RSRC2:SCRATCH_EN: 0
; COMPUTE_PGM_RSRC2:USER_SGPR: 2
; COMPUTE_PGM_RSRC2:TRAP_HANDLER: 0
; COMPUTE_PGM_RSRC2:TGID_X_EN: 1
; COMPUTE_PGM_RSRC2:TGID_Y_EN: 0
; COMPUTE_PGM_RSRC2:TGID_Z_EN: 0
; COMPUTE_PGM_RSRC2:TIDIG_COMP_CNT: 0
; COMPUTE_PGM_RSRC3_GFX90A:ACCUM_OFFSET: 1
; COMPUTE_PGM_RSRC3_GFX90A:TG_SPLIT: 0
	.section	.text._Z6kernelI10flag_headshLj256ELj3ELb0ELj100EEvPKT0_PS1_,"axG",@progbits,_Z6kernelI10flag_headshLj256ELj3ELb0ELj100EEvPKT0_PS1_,comdat
	.protected	_Z6kernelI10flag_headshLj256ELj3ELb0ELj100EEvPKT0_PS1_ ; -- Begin function _Z6kernelI10flag_headshLj256ELj3ELb0ELj100EEvPKT0_PS1_
	.globl	_Z6kernelI10flag_headshLj256ELj3ELb0ELj100EEvPKT0_PS1_
	.p2align	8
	.type	_Z6kernelI10flag_headshLj256ELj3ELb0ELj100EEvPKT0_PS1_,@function
_Z6kernelI10flag_headshLj256ELj3ELb0ELj100EEvPKT0_PS1_: ; @_Z6kernelI10flag_headshLj256ELj3ELb0ELj100EEvPKT0_PS1_
; %bb.0:
	s_load_dwordx4 s[4:7], s[0:1], 0x0
	s_mulk_i32 s2, 0x300
	v_mov_b32_e32 v1, 0
	s_movk_i32 s3, 0x64
	v_cmp_ne_u32_e32 vcc, 0, v0
	s_waitcnt lgkmcnt(0)
	s_add_u32 s0, s4, s2
	s_addc_u32 s1, s5, 0
	global_load_ubyte v3, v0, s[0:1] offset:256
	global_load_ubyte v4, v0, s[0:1]
	global_load_ubyte v5, v0, s[0:1] offset:512
	s_mov_b32 s4, 0x10000
	v_add_u32_e32 v2, -1, v0
	s_waitcnt vmcnt(2)
	v_lshlrev_b16_e32 v3, 8, v3
	s_waitcnt vmcnt(1)
	v_or_b32_e32 v3, v4, v3
	v_and_b32_e32 v3, 0xffff, v3
	s_waitcnt vmcnt(0)
	v_lshl_or_b32 v4, v5, 16, v3
	v_mov_b32_e32 v3, 8
	s_branch .LBB22_2
.LBB22_1:                               ;   in Loop: Header=BB22_2 Depth=1
	s_or_b64 exec, exec, s[0:1]
	v_add_u16_e32 v7, v8, v4
	v_lshrrev_b32_e32 v4, 8, v8
	v_add_u16_e32 v6, v4, v6
	v_add_u16_sdwa v5, v8, v5 dst_sel:DWORD dst_unused:UNUSED_PAD src0_sel:WORD_1 src1_sel:DWORD
	v_lshlrev_b16_e32 v4, 8, v6
	v_and_b32_e32 v8, 0xff, v5
	v_or_b32_sdwa v4, v7, v4 dst_sel:DWORD dst_unused:UNUSED_PAD src0_sel:BYTE_0 src1_sel:DWORD
	v_lshlrev_b32_e32 v8, 16, v8
	s_add_i32 s3, s3, -1
	v_or_b32_sdwa v4, v4, v8 dst_sel:DWORD dst_unused:UNUSED_PAD src0_sel:WORD_0 src1_sel:DWORD
	s_cmp_lg_u32 s3, 0
	s_barrier
	s_cbranch_scc0 .LBB22_4
.LBB22_2:                               ; =>This Inner Loop Header: Depth=1
	v_lshrrev_b32_e32 v6, 8, v4
	v_cmp_eq_u16_sdwa s[0:1], v4, v6 src0_sel:BYTE_0 src1_sel:BYTE_0
	v_lshrrev_b32_e32 v5, 16, v4
	ds_write_b8 v0, v5
	v_cndmask_b32_e64 v7, 0, 1, s[0:1]
	v_lshlrev_b16_e32 v7, 8, v7
	v_or_b32_e32 v7, 1, v7
	v_cmp_eq_u16_sdwa s[0:1], v6, v5 src0_sel:BYTE_0 src1_sel:BYTE_0
	v_and_b32_e32 v7, 0xffff, v7
	s_waitcnt lgkmcnt(0)
	v_cndmask_b32_e64 v8, 0, 1, s[0:1]
	v_lshl_or_b32 v8, v8, 16, v7
	s_barrier
	s_and_saveexec_b64 s[0:1], vcc
	s_cbranch_execz .LBB22_1
; %bb.3:                                ;   in Loop: Header=BB22_2 Depth=1
	ds_read_u8 v7, v2
	v_lshrrev_b32_sdwa v9, v3, v8 dst_sel:BYTE_1 dst_unused:UNUSED_PAD src0_sel:DWORD src1_sel:DWORD
	s_waitcnt lgkmcnt(0)
	v_cmp_eq_u16_sdwa s[8:9], v7, v4 src0_sel:DWORD src1_sel:BYTE_0
	s_nop 1
	v_cndmask_b32_e64 v7, 0, 1, s[8:9]
	v_or_b32_e32 v7, v7, v9
	v_and_b32_e32 v7, 0xffff, v7
	v_and_or_b32 v8, v8, s4, v7
	s_branch .LBB22_1
.LBB22_4:
	s_add_u32 s0, s6, s2
	s_addc_u32 s1, s7, 0
	v_lshl_add_u64 v[0:1], s[0:1], 0, v[0:1]
	global_store_byte v[0:1], v7, off
	global_store_byte v[0:1], v6, off offset:256
	global_store_byte v[0:1], v5, off offset:512
	s_endpgm
	.section	.rodata,"a",@progbits
	.p2align	6, 0x0
	.amdhsa_kernel _Z6kernelI10flag_headshLj256ELj3ELb0ELj100EEvPKT0_PS1_
		.amdhsa_group_segment_fixed_size 512
		.amdhsa_private_segment_fixed_size 0
		.amdhsa_kernarg_size 16
		.amdhsa_user_sgpr_count 2
		.amdhsa_user_sgpr_dispatch_ptr 0
		.amdhsa_user_sgpr_queue_ptr 0
		.amdhsa_user_sgpr_kernarg_segment_ptr 1
		.amdhsa_user_sgpr_dispatch_id 0
		.amdhsa_user_sgpr_kernarg_preload_length 0
		.amdhsa_user_sgpr_kernarg_preload_offset 0
		.amdhsa_user_sgpr_private_segment_size 0
		.amdhsa_uses_dynamic_stack 0
		.amdhsa_enable_private_segment 0
		.amdhsa_system_sgpr_workgroup_id_x 1
		.amdhsa_system_sgpr_workgroup_id_y 0
		.amdhsa_system_sgpr_workgroup_id_z 0
		.amdhsa_system_sgpr_workgroup_info 0
		.amdhsa_system_vgpr_workitem_id 0
		.amdhsa_next_free_vgpr 10
		.amdhsa_next_free_sgpr 10
		.amdhsa_accum_offset 12
		.amdhsa_reserve_vcc 1
		.amdhsa_float_round_mode_32 0
		.amdhsa_float_round_mode_16_64 0
		.amdhsa_float_denorm_mode_32 3
		.amdhsa_float_denorm_mode_16_64 3
		.amdhsa_dx10_clamp 1
		.amdhsa_ieee_mode 1
		.amdhsa_fp16_overflow 0
		.amdhsa_tg_split 0
		.amdhsa_exception_fp_ieee_invalid_op 0
		.amdhsa_exception_fp_denorm_src 0
		.amdhsa_exception_fp_ieee_div_zero 0
		.amdhsa_exception_fp_ieee_overflow 0
		.amdhsa_exception_fp_ieee_underflow 0
		.amdhsa_exception_fp_ieee_inexact 0
		.amdhsa_exception_int_div_zero 0
	.end_amdhsa_kernel
	.section	.text._Z6kernelI10flag_headshLj256ELj3ELb0ELj100EEvPKT0_PS1_,"axG",@progbits,_Z6kernelI10flag_headshLj256ELj3ELb0ELj100EEvPKT0_PS1_,comdat
.Lfunc_end22:
	.size	_Z6kernelI10flag_headshLj256ELj3ELb0ELj100EEvPKT0_PS1_, .Lfunc_end22-_Z6kernelI10flag_headshLj256ELj3ELb0ELj100EEvPKT0_PS1_
                                        ; -- End function
	.section	.AMDGPU.csdata,"",@progbits
; Kernel info:
; codeLenInByte = 384
; NumSgprs: 16
; NumVgprs: 10
; NumAgprs: 0
; TotalNumVgprs: 10
; ScratchSize: 0
; MemoryBound: 0
; FloatMode: 240
; IeeeMode: 1
; LDSByteSize: 512 bytes/workgroup (compile time only)
; SGPRBlocks: 1
; VGPRBlocks: 1
; NumSGPRsForWavesPerEU: 16
; NumVGPRsForWavesPerEU: 10
; AccumOffset: 12
; Occupancy: 8
; WaveLimiterHint : 1
; COMPUTE_PGM_RSRC2:SCRATCH_EN: 0
; COMPUTE_PGM_RSRC2:USER_SGPR: 2
; COMPUTE_PGM_RSRC2:TRAP_HANDLER: 0
; COMPUTE_PGM_RSRC2:TGID_X_EN: 1
; COMPUTE_PGM_RSRC2:TGID_Y_EN: 0
; COMPUTE_PGM_RSRC2:TGID_Z_EN: 0
; COMPUTE_PGM_RSRC2:TIDIG_COMP_CNT: 0
; COMPUTE_PGM_RSRC3_GFX90A:ACCUM_OFFSET: 2
; COMPUTE_PGM_RSRC3_GFX90A:TG_SPLIT: 0
	.section	.text._Z6kernelI10flag_headshLj256ELj4ELb0ELj100EEvPKT0_PS1_,"axG",@progbits,_Z6kernelI10flag_headshLj256ELj4ELb0ELj100EEvPKT0_PS1_,comdat
	.protected	_Z6kernelI10flag_headshLj256ELj4ELb0ELj100EEvPKT0_PS1_ ; -- Begin function _Z6kernelI10flag_headshLj256ELj4ELb0ELj100EEvPKT0_PS1_
	.globl	_Z6kernelI10flag_headshLj256ELj4ELb0ELj100EEvPKT0_PS1_
	.p2align	8
	.type	_Z6kernelI10flag_headshLj256ELj4ELb0ELj100EEvPKT0_PS1_,@function
_Z6kernelI10flag_headshLj256ELj4ELb0ELj100EEvPKT0_PS1_: ; @_Z6kernelI10flag_headshLj256ELj4ELb0ELj100EEvPKT0_PS1_
; %bb.0:
	s_load_dwordx4 s[4:7], s[0:1], 0x0
	s_lshl_b32 s2, s2, 10
	v_mov_b32_e32 v1, 0
	s_movk_i32 s3, 0x64
	v_cmp_ne_u32_e32 vcc, 0, v0
	s_waitcnt lgkmcnt(0)
	s_add_u32 s0, s4, s2
	s_addc_u32 s1, s5, 0
	global_load_ubyte v3, v0, s[0:1] offset:256
	global_load_ubyte v4, v0, s[0:1] offset:768
	global_load_ubyte v5, v0, s[0:1]
	global_load_ubyte v6, v0, s[0:1] offset:512
	s_movk_i32 s4, 0xff
	v_add_u32_e32 v2, -1, v0
	s_mov_b32 s5, 0x1ff0000
	s_waitcnt vmcnt(3)
	v_lshlrev_b16_e32 v3, 8, v3
	s_waitcnt vmcnt(2)
	v_lshlrev_b16_e32 v4, 8, v4
	s_waitcnt vmcnt(1)
	v_or_b32_e32 v3, v5, v3
	s_waitcnt vmcnt(0)
	v_or_b32_sdwa v4, v6, v4 dst_sel:WORD_1 dst_unused:UNUSED_PAD src0_sel:DWORD src1_sel:DWORD
	s_nop 0
	v_or_b32_sdwa v3, v3, v4 dst_sel:DWORD dst_unused:UNUSED_PAD src0_sel:WORD_0 src1_sel:DWORD
	s_branch .LBB23_2
.LBB23_1:                               ;   in Loop: Header=BB23_2 Depth=1
	s_or_b64 exec, exec, s[0:1]
	v_lshrrev_b32_e32 v9, 8, v8
	v_lshrrev_b32_e32 v7, 16, v8
	v_add_u16_e32 v5, v9, v5
	v_add_u16_sdwa v4, v8, v4 dst_sel:DWORD dst_unused:UNUSED_PAD src0_sel:BYTE_3 src1_sel:DWORD
	v_add_u16_e32 v6, v8, v3
	v_add_u16_sdwa v7, v7, v3 dst_sel:DWORD dst_unused:UNUSED_PAD src0_sel:DWORD src1_sel:WORD_1
	v_lshlrev_b16_e32 v3, 8, v5
	v_lshlrev_b16_e32 v8, 8, v4
	v_or_b32_sdwa v3, v6, v3 dst_sel:DWORD dst_unused:UNUSED_PAD src0_sel:BYTE_0 src1_sel:DWORD
	v_or_b32_sdwa v8, v7, v8 dst_sel:WORD_1 dst_unused:UNUSED_PAD src0_sel:BYTE_0 src1_sel:DWORD
	s_add_i32 s3, s3, -1
	v_or_b32_sdwa v3, v3, v8 dst_sel:DWORD dst_unused:UNUSED_PAD src0_sel:WORD_0 src1_sel:DWORD
	s_cmp_lg_u32 s3, 0
	s_barrier
	s_cbranch_scc0 .LBB23_4
.LBB23_2:                               ; =>This Inner Loop Header: Depth=1
	v_lshrrev_b32_e32 v4, 24, v3
	v_and_b32_sdwa v6, v3, s4 dst_sel:DWORD dst_unused:UNUSED_PAD src0_sel:WORD_1 src1_sel:DWORD
	v_cmp_eq_u16_e64 s[0:1], v6, v4
	v_lshrrev_b32_e32 v5, 8, v3
	ds_write_b8 v0, v4
	v_cndmask_b32_e64 v7, 0, 1, s[0:1]
	v_cmp_eq_u16_sdwa s[0:1], v5, v6 src0_sel:BYTE_0 src1_sel:DWORD
	v_lshlrev_b16_e32 v7, 8, v7
	s_waitcnt lgkmcnt(0)
	v_cndmask_b32_e64 v6, 0, 1, s[0:1]
	v_cmp_eq_u16_sdwa s[0:1], v3, v5 src0_sel:BYTE_0 src1_sel:BYTE_0
	v_or_b32_sdwa v6, v6, v7 dst_sel:WORD_1 dst_unused:UNUSED_PAD src0_sel:DWORD src1_sel:DWORD
	s_barrier
	v_cndmask_b32_e64 v8, 0, 1, s[0:1]
	v_lshlrev_b16_e32 v7, 8, v8
	v_or_b32_e32 v7, 1, v7
	v_or_b32_sdwa v8, v7, v6 dst_sel:DWORD dst_unused:UNUSED_PAD src0_sel:WORD_0 src1_sel:DWORD
	s_and_saveexec_b64 s[0:1], vcc
	s_cbranch_execz .LBB23_1
; %bb.3:                                ;   in Loop: Header=BB23_2 Depth=1
	ds_read_u8 v6, v2
	v_and_b32_e32 v7, 0xffffff00, v8
	s_waitcnt lgkmcnt(0)
	v_cmp_eq_u16_sdwa s[8:9], v6, v3 src0_sel:DWORD src1_sel:BYTE_0
	s_nop 1
	v_cndmask_b32_e64 v6, 0, 1, s[8:9]
	v_or_b32_e32 v6, v6, v7
	v_and_b32_e32 v6, 0xffff, v6
	v_and_or_b32 v8, v8, s5, v6
	s_branch .LBB23_1
.LBB23_4:
	s_add_u32 s0, s6, s2
	s_addc_u32 s1, s7, 0
	v_lshl_add_u64 v[0:1], s[0:1], 0, v[0:1]
	global_store_byte v[0:1], v6, off
	global_store_byte v[0:1], v5, off offset:256
	global_store_byte v[0:1], v7, off offset:512
	;; [unrolled: 1-line block ×3, first 2 shown]
	s_endpgm
	.section	.rodata,"a",@progbits
	.p2align	6, 0x0
	.amdhsa_kernel _Z6kernelI10flag_headshLj256ELj4ELb0ELj100EEvPKT0_PS1_
		.amdhsa_group_segment_fixed_size 512
		.amdhsa_private_segment_fixed_size 0
		.amdhsa_kernarg_size 16
		.amdhsa_user_sgpr_count 2
		.amdhsa_user_sgpr_dispatch_ptr 0
		.amdhsa_user_sgpr_queue_ptr 0
		.amdhsa_user_sgpr_kernarg_segment_ptr 1
		.amdhsa_user_sgpr_dispatch_id 0
		.amdhsa_user_sgpr_kernarg_preload_length 0
		.amdhsa_user_sgpr_kernarg_preload_offset 0
		.amdhsa_user_sgpr_private_segment_size 0
		.amdhsa_uses_dynamic_stack 0
		.amdhsa_enable_private_segment 0
		.amdhsa_system_sgpr_workgroup_id_x 1
		.amdhsa_system_sgpr_workgroup_id_y 0
		.amdhsa_system_sgpr_workgroup_id_z 0
		.amdhsa_system_sgpr_workgroup_info 0
		.amdhsa_system_vgpr_workitem_id 0
		.amdhsa_next_free_vgpr 10
		.amdhsa_next_free_sgpr 10
		.amdhsa_accum_offset 12
		.amdhsa_reserve_vcc 1
		.amdhsa_float_round_mode_32 0
		.amdhsa_float_round_mode_16_64 0
		.amdhsa_float_denorm_mode_32 3
		.amdhsa_float_denorm_mode_16_64 3
		.amdhsa_dx10_clamp 1
		.amdhsa_ieee_mode 1
		.amdhsa_fp16_overflow 0
		.amdhsa_tg_split 0
		.amdhsa_exception_fp_ieee_invalid_op 0
		.amdhsa_exception_fp_denorm_src 0
		.amdhsa_exception_fp_ieee_div_zero 0
		.amdhsa_exception_fp_ieee_overflow 0
		.amdhsa_exception_fp_ieee_underflow 0
		.amdhsa_exception_fp_ieee_inexact 0
		.amdhsa_exception_int_div_zero 0
	.end_amdhsa_kernel
	.section	.text._Z6kernelI10flag_headshLj256ELj4ELb0ELj100EEvPKT0_PS1_,"axG",@progbits,_Z6kernelI10flag_headshLj256ELj4ELb0ELj100EEvPKT0_PS1_,comdat
.Lfunc_end23:
	.size	_Z6kernelI10flag_headshLj256ELj4ELb0ELj100EEvPKT0_PS1_, .Lfunc_end23-_Z6kernelI10flag_headshLj256ELj4ELb0ELj100EEvPKT0_PS1_
                                        ; -- End function
	.section	.AMDGPU.csdata,"",@progbits
; Kernel info:
; codeLenInByte = 452
; NumSgprs: 16
; NumVgprs: 10
; NumAgprs: 0
; TotalNumVgprs: 10
; ScratchSize: 0
; MemoryBound: 0
; FloatMode: 240
; IeeeMode: 1
; LDSByteSize: 512 bytes/workgroup (compile time only)
; SGPRBlocks: 1
; VGPRBlocks: 1
; NumSGPRsForWavesPerEU: 16
; NumVGPRsForWavesPerEU: 10
; AccumOffset: 12
; Occupancy: 8
; WaveLimiterHint : 1
; COMPUTE_PGM_RSRC2:SCRATCH_EN: 0
; COMPUTE_PGM_RSRC2:USER_SGPR: 2
; COMPUTE_PGM_RSRC2:TRAP_HANDLER: 0
; COMPUTE_PGM_RSRC2:TGID_X_EN: 1
; COMPUTE_PGM_RSRC2:TGID_Y_EN: 0
; COMPUTE_PGM_RSRC2:TGID_Z_EN: 0
; COMPUTE_PGM_RSRC2:TIDIG_COMP_CNT: 0
; COMPUTE_PGM_RSRC3_GFX90A:ACCUM_OFFSET: 2
; COMPUTE_PGM_RSRC3_GFX90A:TG_SPLIT: 0
	.section	.text._Z6kernelI10flag_headshLj256ELj8ELb0ELj100EEvPKT0_PS1_,"axG",@progbits,_Z6kernelI10flag_headshLj256ELj8ELb0ELj100EEvPKT0_PS1_,comdat
	.protected	_Z6kernelI10flag_headshLj256ELj8ELb0ELj100EEvPKT0_PS1_ ; -- Begin function _Z6kernelI10flag_headshLj256ELj8ELb0ELj100EEvPKT0_PS1_
	.globl	_Z6kernelI10flag_headshLj256ELj8ELb0ELj100EEvPKT0_PS1_
	.p2align	8
	.type	_Z6kernelI10flag_headshLj256ELj8ELb0ELj100EEvPKT0_PS1_,@function
_Z6kernelI10flag_headshLj256ELj8ELb0ELj100EEvPKT0_PS1_: ; @_Z6kernelI10flag_headshLj256ELj8ELb0ELj100EEvPKT0_PS1_
; %bb.0:
	s_load_dwordx4 s[4:7], s[0:1], 0x0
	s_lshl_b32 s2, s2, 11
	v_mov_b32_e32 v1, 0
	s_movk_i32 s3, 0x64
	v_cmp_ne_u32_e32 vcc, 0, v0
	s_waitcnt lgkmcnt(0)
	s_add_u32 s0, s4, s2
	s_addc_u32 s1, s5, 0
	global_load_ubyte v2, v0, s[0:1] offset:256
	global_load_ubyte v3, v0, s[0:1] offset:768
	;; [unrolled: 1-line block ×4, first 2 shown]
	global_load_ubyte v7, v0, s[0:1]
	global_load_ubyte v8, v0, s[0:1] offset:512
	global_load_ubyte v9, v0, s[0:1] offset:1024
	;; [unrolled: 1-line block ×3, first 2 shown]
	s_movk_i32 s4, 0xff
	v_add_u32_e32 v6, -1, v0
	s_waitcnt vmcnt(7)
	v_lshlrev_b16_e32 v2, 8, v2
	s_waitcnt vmcnt(6)
	v_lshlrev_b16_e32 v3, 8, v3
	;; [unrolled: 2-line block ×4, first 2 shown]
	s_waitcnt vmcnt(3)
	v_or_b32_e32 v2, v7, v2
	s_waitcnt vmcnt(2)
	v_or_b32_sdwa v3, v8, v3 dst_sel:WORD_1 dst_unused:UNUSED_PAD src0_sel:DWORD src1_sel:DWORD
	s_waitcnt vmcnt(1)
	v_or_b32_e32 v4, v9, v4
	s_waitcnt vmcnt(0)
	v_or_b32_sdwa v5, v10, v5 dst_sel:WORD_1 dst_unused:UNUSED_PAD src0_sel:DWORD src1_sel:DWORD
	v_or_b32_sdwa v2, v2, v3 dst_sel:DWORD dst_unused:UNUSED_PAD src0_sel:WORD_0 src1_sel:DWORD
	v_or_b32_sdwa v3, v4, v5 dst_sel:DWORD dst_unused:UNUSED_PAD src0_sel:WORD_0 src1_sel:DWORD
	v_mov_b32_e32 v7, 8
	s_branch .LBB24_2
.LBB24_1:                               ;   in Loop: Header=BB24_2 Depth=1
	s_or_b64 exec, exec, s[0:1]
	v_lshrrev_b32_e32 v13, 8, v11
	v_lshrrev_b32_e32 v14, 16, v10
	v_add_u16_e32 v5, v13, v5
	v_lshrrev_b32_e32 v13, 16, v11
	v_add_u16_sdwa v4, v11, v4 dst_sel:DWORD dst_unused:UNUSED_PAD src0_sel:BYTE_3 src1_sel:DWORD
	v_lshrrev_b32_e32 v15, 8, v10
	v_add_u16_e32 v12, v11, v2
	v_add_u16_sdwa v13, v13, v2 dst_sel:DWORD dst_unused:UNUSED_PAD src0_sel:DWORD src1_sel:WORD_1
	v_add_u16_e32 v11, v10, v3
	v_add_u16_sdwa v14, v14, v3 dst_sel:DWORD dst_unused:UNUSED_PAD src0_sel:DWORD src1_sel:WORD_1
	v_lshlrev_b16_e32 v2, 8, v5
	v_lshlrev_b16_e32 v3, 8, v4
	v_add_u16_e32 v9, v15, v9
	v_add_u16_sdwa v8, v10, v8 dst_sel:DWORD dst_unused:UNUSED_PAD src0_sel:BYTE_3 src1_sel:DWORD
	v_or_b32_sdwa v2, v12, v2 dst_sel:DWORD dst_unused:UNUSED_PAD src0_sel:BYTE_0 src1_sel:DWORD
	v_or_b32_sdwa v3, v13, v3 dst_sel:WORD_1 dst_unused:UNUSED_PAD src0_sel:BYTE_0 src1_sel:DWORD
	v_lshlrev_b16_e32 v10, 8, v8
	v_or_b32_sdwa v2, v2, v3 dst_sel:DWORD dst_unused:UNUSED_PAD src0_sel:WORD_0 src1_sel:DWORD
	v_lshlrev_b16_e32 v3, 8, v9
	v_or_b32_sdwa v3, v11, v3 dst_sel:DWORD dst_unused:UNUSED_PAD src0_sel:BYTE_0 src1_sel:DWORD
	v_or_b32_sdwa v10, v14, v10 dst_sel:WORD_1 dst_unused:UNUSED_PAD src0_sel:BYTE_0 src1_sel:DWORD
	s_add_i32 s3, s3, -1
	s_cmp_lg_u32 s3, 0
	v_or_b32_sdwa v3, v3, v10 dst_sel:DWORD dst_unused:UNUSED_PAD src0_sel:WORD_0 src1_sel:DWORD
	s_barrier
	s_cbranch_scc0 .LBB24_4
.LBB24_2:                               ; =>This Inner Loop Header: Depth=1
	v_lshrrev_b32_e32 v8, 24, v3
	v_and_b32_sdwa v4, v3, s4 dst_sel:DWORD dst_unused:UNUSED_PAD src0_sel:WORD_1 src1_sel:DWORD
	v_lshrrev_b32_e32 v9, 8, v3
	v_cmp_eq_u16_e64 s[0:1], v4, v8
	v_and_b32_sdwa v11, v2, s4 dst_sel:DWORD dst_unused:UNUSED_PAD src0_sel:WORD_1 src1_sel:DWORD
	ds_write_b8 v0, v8
	v_cndmask_b32_e64 v10, 0, 1, s[0:1]
	v_cmp_eq_u16_sdwa s[0:1], v9, v4 src0_sel:BYTE_0 src1_sel:DWORD
	v_lshrrev_b64 v[4:5], 24, v[2:3]
	v_lshrrev_b32_e32 v5, 8, v2
	v_cndmask_b32_e64 v12, 0, 1, s[0:1]
	v_cmp_eq_u16_sdwa s[0:1], v3, v9 src0_sel:BYTE_0 src1_sel:BYTE_0
	v_lshlrev_b16_e32 v10, 8, v10
	v_or_b32_sdwa v10, v12, v10 dst_sel:WORD_1 dst_unused:UNUSED_PAD src0_sel:DWORD src1_sel:DWORD
	v_cndmask_b32_e64 v13, 0, 1, s[0:1]
	v_cmp_eq_u16_sdwa s[0:1], v4, v3 src0_sel:BYTE_0 src1_sel:BYTE_0
	v_lshlrev_b16_e32 v13, 8, v13
	s_waitcnt lgkmcnt(0)
	v_cndmask_b32_e64 v14, 0, 1, s[0:1]
	v_cmp_eq_u16_sdwa s[0:1], v11, v4 src0_sel:DWORD src1_sel:BYTE_0
	v_or_b32_e32 v13, v14, v13
	v_or_b32_sdwa v10, v13, v10 dst_sel:DWORD dst_unused:UNUSED_PAD src0_sel:WORD_0 src1_sel:DWORD
	v_cndmask_b32_e64 v15, 0, 1, s[0:1]
	v_cmp_eq_u16_sdwa s[0:1], v5, v11 src0_sel:BYTE_0 src1_sel:DWORD
	v_lshlrev_b16_e32 v15, 8, v15
	s_barrier
	v_cndmask_b32_e64 v11, 0, 1, s[0:1]
	v_cmp_eq_u16_sdwa s[0:1], v2, v5 src0_sel:BYTE_0 src1_sel:BYTE_0
	v_or_b32_sdwa v11, v11, v15 dst_sel:WORD_1 dst_unused:UNUSED_PAD src0_sel:DWORD src1_sel:DWORD
	s_nop 0
	v_cndmask_b32_e64 v16, 0, 1, s[0:1]
	v_lshlrev_b16_e32 v15, 8, v16
	v_or_b32_e32 v15, 1, v15
	v_or_b32_sdwa v11, v15, v11 dst_sel:DWORD dst_unused:UNUSED_PAD src0_sel:WORD_0 src1_sel:DWORD
	s_and_saveexec_b64 s[0:1], vcc
	s_cbranch_execz .LBB24_1
; %bb.3:                                ;   in Loop: Header=BB24_2 Depth=1
	ds_read_u8 v12, v6
	v_lshrrev_b32_e32 v14, 24, v11
	v_lshrrev_b32_sdwa v13, v7, v11 dst_sel:BYTE_1 dst_unused:UNUSED_PAD src0_sel:DWORD src1_sel:DWORD
	v_lshlrev_b16_e32 v14, 8, v14
	v_and_b32_sdwa v11, v11, s4 dst_sel:DWORD dst_unused:UNUSED_PAD src0_sel:WORD_1 src1_sel:DWORD
	s_waitcnt lgkmcnt(0)
	v_cmp_eq_u16_sdwa s[8:9], v12, v2 src0_sel:DWORD src1_sel:BYTE_0
	v_or_b32_sdwa v11, v11, v14 dst_sel:WORD_1 dst_unused:UNUSED_PAD src0_sel:DWORD src1_sel:DWORD
	s_nop 0
	v_cndmask_b32_e64 v12, 0, 1, s[8:9]
	v_or_b32_e32 v12, v12, v13
	v_or_b32_sdwa v11, v12, v11 dst_sel:DWORD dst_unused:UNUSED_PAD src0_sel:WORD_0 src1_sel:DWORD
	s_branch .LBB24_1
.LBB24_4:
	s_add_u32 s0, s6, s2
	s_addc_u32 s1, s7, 0
	v_lshl_add_u64 v[0:1], s[0:1], 0, v[0:1]
	global_store_byte v[0:1], v12, off
	global_store_byte v[0:1], v5, off offset:256
	global_store_byte v[0:1], v13, off offset:512
	;; [unrolled: 1-line block ×7, first 2 shown]
	s_endpgm
	.section	.rodata,"a",@progbits
	.p2align	6, 0x0
	.amdhsa_kernel _Z6kernelI10flag_headshLj256ELj8ELb0ELj100EEvPKT0_PS1_
		.amdhsa_group_segment_fixed_size 512
		.amdhsa_private_segment_fixed_size 0
		.amdhsa_kernarg_size 16
		.amdhsa_user_sgpr_count 2
		.amdhsa_user_sgpr_dispatch_ptr 0
		.amdhsa_user_sgpr_queue_ptr 0
		.amdhsa_user_sgpr_kernarg_segment_ptr 1
		.amdhsa_user_sgpr_dispatch_id 0
		.amdhsa_user_sgpr_kernarg_preload_length 0
		.amdhsa_user_sgpr_kernarg_preload_offset 0
		.amdhsa_user_sgpr_private_segment_size 0
		.amdhsa_uses_dynamic_stack 0
		.amdhsa_enable_private_segment 0
		.amdhsa_system_sgpr_workgroup_id_x 1
		.amdhsa_system_sgpr_workgroup_id_y 0
		.amdhsa_system_sgpr_workgroup_id_z 0
		.amdhsa_system_sgpr_workgroup_info 0
		.amdhsa_system_vgpr_workitem_id 0
		.amdhsa_next_free_vgpr 17
		.amdhsa_next_free_sgpr 10
		.amdhsa_accum_offset 20
		.amdhsa_reserve_vcc 1
		.amdhsa_float_round_mode_32 0
		.amdhsa_float_round_mode_16_64 0
		.amdhsa_float_denorm_mode_32 3
		.amdhsa_float_denorm_mode_16_64 3
		.amdhsa_dx10_clamp 1
		.amdhsa_ieee_mode 1
		.amdhsa_fp16_overflow 0
		.amdhsa_tg_split 0
		.amdhsa_exception_fp_ieee_invalid_op 0
		.amdhsa_exception_fp_denorm_src 0
		.amdhsa_exception_fp_ieee_div_zero 0
		.amdhsa_exception_fp_ieee_overflow 0
		.amdhsa_exception_fp_ieee_underflow 0
		.amdhsa_exception_fp_ieee_inexact 0
		.amdhsa_exception_int_div_zero 0
	.end_amdhsa_kernel
	.section	.text._Z6kernelI10flag_headshLj256ELj8ELb0ELj100EEvPKT0_PS1_,"axG",@progbits,_Z6kernelI10flag_headshLj256ELj8ELb0ELj100EEvPKT0_PS1_,comdat
.Lfunc_end24:
	.size	_Z6kernelI10flag_headshLj256ELj8ELb0ELj100EEvPKT0_PS1_, .Lfunc_end24-_Z6kernelI10flag_headshLj256ELj8ELb0ELj100EEvPKT0_PS1_
                                        ; -- End function
	.section	.AMDGPU.csdata,"",@progbits
; Kernel info:
; codeLenInByte = 748
; NumSgprs: 16
; NumVgprs: 17
; NumAgprs: 0
; TotalNumVgprs: 17
; ScratchSize: 0
; MemoryBound: 0
; FloatMode: 240
; IeeeMode: 1
; LDSByteSize: 512 bytes/workgroup (compile time only)
; SGPRBlocks: 1
; VGPRBlocks: 2
; NumSGPRsForWavesPerEU: 16
; NumVGPRsForWavesPerEU: 17
; AccumOffset: 20
; Occupancy: 8
; WaveLimiterHint : 1
; COMPUTE_PGM_RSRC2:SCRATCH_EN: 0
; COMPUTE_PGM_RSRC2:USER_SGPR: 2
; COMPUTE_PGM_RSRC2:TRAP_HANDLER: 0
; COMPUTE_PGM_RSRC2:TGID_X_EN: 1
; COMPUTE_PGM_RSRC2:TGID_Y_EN: 0
; COMPUTE_PGM_RSRC2:TGID_Z_EN: 0
; COMPUTE_PGM_RSRC2:TIDIG_COMP_CNT: 0
; COMPUTE_PGM_RSRC3_GFX90A:ACCUM_OFFSET: 4
; COMPUTE_PGM_RSRC3_GFX90A:TG_SPLIT: 0
	.section	.text._Z6kernelI10flag_headshLj256ELj1ELb1ELj100EEvPKT0_PS1_,"axG",@progbits,_Z6kernelI10flag_headshLj256ELj1ELb1ELj100EEvPKT0_PS1_,comdat
	.protected	_Z6kernelI10flag_headshLj256ELj1ELb1ELj100EEvPKT0_PS1_ ; -- Begin function _Z6kernelI10flag_headshLj256ELj1ELb1ELj100EEvPKT0_PS1_
	.globl	_Z6kernelI10flag_headshLj256ELj1ELb1ELj100EEvPKT0_PS1_
	.p2align	8
	.type	_Z6kernelI10flag_headshLj256ELj1ELb1ELj100EEvPKT0_PS1_,@function
_Z6kernelI10flag_headshLj256ELj1ELb1ELj100EEvPKT0_PS1_: ; @_Z6kernelI10flag_headshLj256ELj1ELb1ELj100EEvPKT0_PS1_
; %bb.0:
	s_load_dwordx4 s[4:7], s[0:1], 0x0
	s_lshl_b32 s2, s2, 8
	v_mov_b32_e32 v1, 0
	v_cmp_ne_u32_e32 vcc, 0, v0
	v_add_u32_e32 v3, -1, v0
	s_waitcnt lgkmcnt(0)
	s_add_u32 s0, s4, s2
	s_addc_u32 s1, s5, 0
	global_load_ubyte v2, v0, s[0:1]
	s_movk_i32 s3, 0x64
	s_branch .LBB25_2
.LBB25_1:                               ;   in Loop: Header=BB25_2 Depth=1
	s_or_b64 exec, exec, s[0:1]
	s_waitcnt lgkmcnt(0)
	v_cmp_eq_u16_sdwa s[0:1], v4, v2 src0_sel:BYTE_0 src1_sel:BYTE_0
	s_add_i32 s3, s3, -1
	s_cmp_lg_u32 s3, 0
	v_cndmask_b32_e64 v4, 0, 1, s[0:1]
	v_add_u16_e32 v2, v2, v4
	s_barrier
	s_cbranch_scc0 .LBB25_4
.LBB25_2:                               ; =>This Inner Loop Header: Depth=1
	v_mov_b32_e32 v4, 0x7b
	s_waitcnt vmcnt(0)
	ds_write_b8 v0, v2
	s_waitcnt lgkmcnt(0)
	s_barrier
	s_and_saveexec_b64 s[0:1], vcc
	s_cbranch_execz .LBB25_1
; %bb.3:                                ;   in Loop: Header=BB25_2 Depth=1
	ds_read_u8 v4, v3
	s_branch .LBB25_1
.LBB25_4:
	s_add_u32 s0, s6, s2
	s_addc_u32 s1, s7, 0
	v_lshl_add_u64 v[0:1], s[0:1], 0, v[0:1]
	global_store_byte v[0:1], v2, off
	s_endpgm
	.section	.rodata,"a",@progbits
	.p2align	6, 0x0
	.amdhsa_kernel _Z6kernelI10flag_headshLj256ELj1ELb1ELj100EEvPKT0_PS1_
		.amdhsa_group_segment_fixed_size 512
		.amdhsa_private_segment_fixed_size 0
		.amdhsa_kernarg_size 16
		.amdhsa_user_sgpr_count 2
		.amdhsa_user_sgpr_dispatch_ptr 0
		.amdhsa_user_sgpr_queue_ptr 0
		.amdhsa_user_sgpr_kernarg_segment_ptr 1
		.amdhsa_user_sgpr_dispatch_id 0
		.amdhsa_user_sgpr_kernarg_preload_length 0
		.amdhsa_user_sgpr_kernarg_preload_offset 0
		.amdhsa_user_sgpr_private_segment_size 0
		.amdhsa_uses_dynamic_stack 0
		.amdhsa_enable_private_segment 0
		.amdhsa_system_sgpr_workgroup_id_x 1
		.amdhsa_system_sgpr_workgroup_id_y 0
		.amdhsa_system_sgpr_workgroup_id_z 0
		.amdhsa_system_sgpr_workgroup_info 0
		.amdhsa_system_vgpr_workitem_id 0
		.amdhsa_next_free_vgpr 5
		.amdhsa_next_free_sgpr 8
		.amdhsa_accum_offset 8
		.amdhsa_reserve_vcc 1
		.amdhsa_float_round_mode_32 0
		.amdhsa_float_round_mode_16_64 0
		.amdhsa_float_denorm_mode_32 3
		.amdhsa_float_denorm_mode_16_64 3
		.amdhsa_dx10_clamp 1
		.amdhsa_ieee_mode 1
		.amdhsa_fp16_overflow 0
		.amdhsa_tg_split 0
		.amdhsa_exception_fp_ieee_invalid_op 0
		.amdhsa_exception_fp_denorm_src 0
		.amdhsa_exception_fp_ieee_div_zero 0
		.amdhsa_exception_fp_ieee_overflow 0
		.amdhsa_exception_fp_ieee_underflow 0
		.amdhsa_exception_fp_ieee_inexact 0
		.amdhsa_exception_int_div_zero 0
	.end_amdhsa_kernel
	.section	.text._Z6kernelI10flag_headshLj256ELj1ELb1ELj100EEvPKT0_PS1_,"axG",@progbits,_Z6kernelI10flag_headshLj256ELj1ELb1ELj100EEvPKT0_PS1_,comdat
.Lfunc_end25:
	.size	_Z6kernelI10flag_headshLj256ELj1ELb1ELj100EEvPKT0_PS1_, .Lfunc_end25-_Z6kernelI10flag_headshLj256ELj1ELb1ELj100EEvPKT0_PS1_
                                        ; -- End function
	.section	.AMDGPU.csdata,"",@progbits
; Kernel info:
; codeLenInByte = 172
; NumSgprs: 14
; NumVgprs: 5
; NumAgprs: 0
; TotalNumVgprs: 5
; ScratchSize: 0
; MemoryBound: 0
; FloatMode: 240
; IeeeMode: 1
; LDSByteSize: 512 bytes/workgroup (compile time only)
; SGPRBlocks: 1
; VGPRBlocks: 0
; NumSGPRsForWavesPerEU: 14
; NumVGPRsForWavesPerEU: 5
; AccumOffset: 8
; Occupancy: 8
; WaveLimiterHint : 0
; COMPUTE_PGM_RSRC2:SCRATCH_EN: 0
; COMPUTE_PGM_RSRC2:USER_SGPR: 2
; COMPUTE_PGM_RSRC2:TRAP_HANDLER: 0
; COMPUTE_PGM_RSRC2:TGID_X_EN: 1
; COMPUTE_PGM_RSRC2:TGID_Y_EN: 0
; COMPUTE_PGM_RSRC2:TGID_Z_EN: 0
; COMPUTE_PGM_RSRC2:TIDIG_COMP_CNT: 0
; COMPUTE_PGM_RSRC3_GFX90A:ACCUM_OFFSET: 1
; COMPUTE_PGM_RSRC3_GFX90A:TG_SPLIT: 0
	.section	.text._Z6kernelI10flag_headshLj256ELj2ELb1ELj100EEvPKT0_PS1_,"axG",@progbits,_Z6kernelI10flag_headshLj256ELj2ELb1ELj100EEvPKT0_PS1_,comdat
	.protected	_Z6kernelI10flag_headshLj256ELj2ELb1ELj100EEvPKT0_PS1_ ; -- Begin function _Z6kernelI10flag_headshLj256ELj2ELb1ELj100EEvPKT0_PS1_
	.globl	_Z6kernelI10flag_headshLj256ELj2ELb1ELj100EEvPKT0_PS1_
	.p2align	8
	.type	_Z6kernelI10flag_headshLj256ELj2ELb1ELj100EEvPKT0_PS1_,@function
_Z6kernelI10flag_headshLj256ELj2ELb1ELj100EEvPKT0_PS1_: ; @_Z6kernelI10flag_headshLj256ELj2ELb1ELj100EEvPKT0_PS1_
; %bb.0:
	s_load_dwordx4 s[4:7], s[0:1], 0x0
	s_lshl_b32 s2, s2, 9
	v_mov_b32_e32 v1, 0
	v_cmp_ne_u32_e32 vcc, 0, v0
	v_add_u32_e32 v2, -1, v0
	s_waitcnt lgkmcnt(0)
	s_add_u32 s0, s4, s2
	s_addc_u32 s1, s5, 0
	global_load_ubyte v3, v0, s[0:1] offset:256
	global_load_ubyte v4, v0, s[0:1]
	s_movk_i32 s3, 0x64
	s_waitcnt vmcnt(1)
	v_lshlrev_b16_e32 v3, 8, v3
	s_waitcnt vmcnt(0)
	v_or_b32_e32 v3, v4, v3
	v_and_b32_e32 v3, 0xffff, v3
	s_branch .LBB26_2
.LBB26_1:                               ;   in Loop: Header=BB26_2 Depth=1
	s_or_b64 exec, exec, s[0:1]
	v_cmp_eq_u16_sdwa s[0:1], v3, v4 src0_sel:BYTE_0 src1_sel:DWORD
	s_add_i32 s3, s3, -1
	s_cmp_lg_u32 s3, 0
	v_cndmask_b32_e64 v6, 0, 1, s[0:1]
	s_waitcnt lgkmcnt(0)
	v_cmp_eq_u16_sdwa s[0:1], v5, v3 src0_sel:BYTE_0 src1_sel:BYTE_0
	v_add_u16_e32 v4, v4, v6
	s_nop 0
	v_cndmask_b32_e64 v5, 0, 1, s[0:1]
	v_add_u16_e32 v5, v3, v5
	v_lshlrev_b16_e32 v3, 8, v4
	v_or_b32_sdwa v3, v5, v3 dst_sel:DWORD dst_unused:UNUSED_PAD src0_sel:BYTE_0 src1_sel:DWORD
	v_and_b32_e32 v3, 0xffff, v3
	s_barrier
	s_cbranch_scc0 .LBB26_4
.LBB26_2:                               ; =>This Inner Loop Header: Depth=1
	v_lshrrev_b16_e32 v4, 8, v3
	v_mov_b32_e32 v5, 0x7b
	ds_write_b8 v0, v4
	s_waitcnt lgkmcnt(0)
	s_barrier
	s_and_saveexec_b64 s[0:1], vcc
	s_cbranch_execz .LBB26_1
; %bb.3:                                ;   in Loop: Header=BB26_2 Depth=1
	ds_read_u8 v5, v2
	s_branch .LBB26_1
.LBB26_4:
	s_add_u32 s0, s6, s2
	s_addc_u32 s1, s7, 0
	v_lshl_add_u64 v[0:1], s[0:1], 0, v[0:1]
	global_store_byte v[0:1], v5, off
	global_store_byte v[0:1], v4, off offset:256
	s_endpgm
	.section	.rodata,"a",@progbits
	.p2align	6, 0x0
	.amdhsa_kernel _Z6kernelI10flag_headshLj256ELj2ELb1ELj100EEvPKT0_PS1_
		.amdhsa_group_segment_fixed_size 512
		.amdhsa_private_segment_fixed_size 0
		.amdhsa_kernarg_size 16
		.amdhsa_user_sgpr_count 2
		.amdhsa_user_sgpr_dispatch_ptr 0
		.amdhsa_user_sgpr_queue_ptr 0
		.amdhsa_user_sgpr_kernarg_segment_ptr 1
		.amdhsa_user_sgpr_dispatch_id 0
		.amdhsa_user_sgpr_kernarg_preload_length 0
		.amdhsa_user_sgpr_kernarg_preload_offset 0
		.amdhsa_user_sgpr_private_segment_size 0
		.amdhsa_uses_dynamic_stack 0
		.amdhsa_enable_private_segment 0
		.amdhsa_system_sgpr_workgroup_id_x 1
		.amdhsa_system_sgpr_workgroup_id_y 0
		.amdhsa_system_sgpr_workgroup_id_z 0
		.amdhsa_system_sgpr_workgroup_info 0
		.amdhsa_system_vgpr_workitem_id 0
		.amdhsa_next_free_vgpr 7
		.amdhsa_next_free_sgpr 8
		.amdhsa_accum_offset 8
		.amdhsa_reserve_vcc 1
		.amdhsa_float_round_mode_32 0
		.amdhsa_float_round_mode_16_64 0
		.amdhsa_float_denorm_mode_32 3
		.amdhsa_float_denorm_mode_16_64 3
		.amdhsa_dx10_clamp 1
		.amdhsa_ieee_mode 1
		.amdhsa_fp16_overflow 0
		.amdhsa_tg_split 0
		.amdhsa_exception_fp_ieee_invalid_op 0
		.amdhsa_exception_fp_denorm_src 0
		.amdhsa_exception_fp_ieee_div_zero 0
		.amdhsa_exception_fp_ieee_overflow 0
		.amdhsa_exception_fp_ieee_underflow 0
		.amdhsa_exception_fp_ieee_inexact 0
		.amdhsa_exception_int_div_zero 0
	.end_amdhsa_kernel
	.section	.text._Z6kernelI10flag_headshLj256ELj2ELb1ELj100EEvPKT0_PS1_,"axG",@progbits,_Z6kernelI10flag_headshLj256ELj2ELb1ELj100EEvPKT0_PS1_,comdat
.Lfunc_end26:
	.size	_Z6kernelI10flag_headshLj256ELj2ELb1ELj100EEvPKT0_PS1_, .Lfunc_end26-_Z6kernelI10flag_headshLj256ELj2ELb1ELj100EEvPKT0_PS1_
                                        ; -- End function
	.section	.AMDGPU.csdata,"",@progbits
; Kernel info:
; codeLenInByte = 256
; NumSgprs: 14
; NumVgprs: 7
; NumAgprs: 0
; TotalNumVgprs: 7
; ScratchSize: 0
; MemoryBound: 0
; FloatMode: 240
; IeeeMode: 1
; LDSByteSize: 512 bytes/workgroup (compile time only)
; SGPRBlocks: 1
; VGPRBlocks: 0
; NumSGPRsForWavesPerEU: 14
; NumVGPRsForWavesPerEU: 7
; AccumOffset: 8
; Occupancy: 8
; WaveLimiterHint : 1
; COMPUTE_PGM_RSRC2:SCRATCH_EN: 0
; COMPUTE_PGM_RSRC2:USER_SGPR: 2
; COMPUTE_PGM_RSRC2:TRAP_HANDLER: 0
; COMPUTE_PGM_RSRC2:TGID_X_EN: 1
; COMPUTE_PGM_RSRC2:TGID_Y_EN: 0
; COMPUTE_PGM_RSRC2:TGID_Z_EN: 0
; COMPUTE_PGM_RSRC2:TIDIG_COMP_CNT: 0
; COMPUTE_PGM_RSRC3_GFX90A:ACCUM_OFFSET: 1
; COMPUTE_PGM_RSRC3_GFX90A:TG_SPLIT: 0
	.section	.text._Z6kernelI10flag_headshLj256ELj3ELb1ELj100EEvPKT0_PS1_,"axG",@progbits,_Z6kernelI10flag_headshLj256ELj3ELb1ELj100EEvPKT0_PS1_,comdat
	.protected	_Z6kernelI10flag_headshLj256ELj3ELb1ELj100EEvPKT0_PS1_ ; -- Begin function _Z6kernelI10flag_headshLj256ELj3ELb1ELj100EEvPKT0_PS1_
	.globl	_Z6kernelI10flag_headshLj256ELj3ELb1ELj100EEvPKT0_PS1_
	.p2align	8
	.type	_Z6kernelI10flag_headshLj256ELj3ELb1ELj100EEvPKT0_PS1_,@function
_Z6kernelI10flag_headshLj256ELj3ELb1ELj100EEvPKT0_PS1_: ; @_Z6kernelI10flag_headshLj256ELj3ELb1ELj100EEvPKT0_PS1_
; %bb.0:
	s_load_dwordx4 s[4:7], s[0:1], 0x0
	s_mulk_i32 s2, 0x300
	v_mov_b32_e32 v1, 0
	v_cmp_ne_u32_e32 vcc, 0, v0
	v_add_u32_e32 v2, -1, v0
	s_waitcnt lgkmcnt(0)
	s_add_u32 s0, s4, s2
	s_addc_u32 s1, s5, 0
	global_load_ubyte v3, v0, s[0:1] offset:256
	global_load_ubyte v4, v0, s[0:1]
	global_load_ubyte v5, v0, s[0:1] offset:512
	s_movk_i32 s3, 0x64
	s_waitcnt vmcnt(2)
	v_lshlrev_b16_e32 v3, 8, v3
	s_waitcnt vmcnt(1)
	v_or_b32_e32 v3, v4, v3
	v_and_b32_e32 v3, 0xffff, v3
	s_waitcnt vmcnt(0)
	v_lshl_or_b32 v3, v5, 16, v3
	s_branch .LBB27_2
.LBB27_1:                               ;   in Loop: Header=BB27_2 Depth=1
	s_or_b64 exec, exec, s[0:1]
	v_lshrrev_b32_e32 v6, 8, v3
	v_cmp_eq_u16_sdwa s[0:1], v6, v4 src0_sel:BYTE_0 src1_sel:BYTE_0
	s_add_i32 s3, s3, -1
	s_cmp_lg_u32 s3, 0
	v_cndmask_b32_e64 v7, 0, 1, s[0:1]
	v_cmp_eq_u16_sdwa s[0:1], v3, v6 src0_sel:BYTE_0 src1_sel:BYTE_0
	v_add_u16_e32 v4, v4, v7
	v_and_b32_e32 v7, 0xff, v4
	v_cndmask_b32_e64 v8, 0, 1, s[0:1]
	s_waitcnt lgkmcnt(0)
	v_cmp_eq_u16_sdwa s[0:1], v5, v3 src0_sel:BYTE_0 src1_sel:BYTE_0
	v_add_u16_e32 v6, v6, v8
	v_lshlrev_b32_e32 v7, 16, v7
	v_cndmask_b32_e64 v5, 0, 1, s[0:1]
	v_add_u16_e32 v5, v3, v5
	v_lshlrev_b16_e32 v3, 8, v6
	v_or_b32_sdwa v3, v5, v3 dst_sel:DWORD dst_unused:UNUSED_PAD src0_sel:BYTE_0 src1_sel:DWORD
	v_or_b32_sdwa v3, v3, v7 dst_sel:DWORD dst_unused:UNUSED_PAD src0_sel:WORD_0 src1_sel:DWORD
	s_barrier
	s_cbranch_scc0 .LBB27_4
.LBB27_2:                               ; =>This Inner Loop Header: Depth=1
	v_lshrrev_b32_e32 v4, 16, v3
	v_mov_b32_e32 v5, 0x7b
	ds_write_b8 v0, v4
	s_waitcnt lgkmcnt(0)
	s_barrier
	s_and_saveexec_b64 s[0:1], vcc
	s_cbranch_execz .LBB27_1
; %bb.3:                                ;   in Loop: Header=BB27_2 Depth=1
	ds_read_u8 v5, v2
	s_branch .LBB27_1
.LBB27_4:
	s_add_u32 s0, s6, s2
	s_addc_u32 s1, s7, 0
	v_lshl_add_u64 v[0:1], s[0:1], 0, v[0:1]
	global_store_byte v[0:1], v5, off
	global_store_byte v[0:1], v6, off offset:256
	global_store_byte v[0:1], v4, off offset:512
	s_endpgm
	.section	.rodata,"a",@progbits
	.p2align	6, 0x0
	.amdhsa_kernel _Z6kernelI10flag_headshLj256ELj3ELb1ELj100EEvPKT0_PS1_
		.amdhsa_group_segment_fixed_size 512
		.amdhsa_private_segment_fixed_size 0
		.amdhsa_kernarg_size 16
		.amdhsa_user_sgpr_count 2
		.amdhsa_user_sgpr_dispatch_ptr 0
		.amdhsa_user_sgpr_queue_ptr 0
		.amdhsa_user_sgpr_kernarg_segment_ptr 1
		.amdhsa_user_sgpr_dispatch_id 0
		.amdhsa_user_sgpr_kernarg_preload_length 0
		.amdhsa_user_sgpr_kernarg_preload_offset 0
		.amdhsa_user_sgpr_private_segment_size 0
		.amdhsa_uses_dynamic_stack 0
		.amdhsa_enable_private_segment 0
		.amdhsa_system_sgpr_workgroup_id_x 1
		.amdhsa_system_sgpr_workgroup_id_y 0
		.amdhsa_system_sgpr_workgroup_id_z 0
		.amdhsa_system_sgpr_workgroup_info 0
		.amdhsa_system_vgpr_workitem_id 0
		.amdhsa_next_free_vgpr 9
		.amdhsa_next_free_sgpr 8
		.amdhsa_accum_offset 12
		.amdhsa_reserve_vcc 1
		.amdhsa_float_round_mode_32 0
		.amdhsa_float_round_mode_16_64 0
		.amdhsa_float_denorm_mode_32 3
		.amdhsa_float_denorm_mode_16_64 3
		.amdhsa_dx10_clamp 1
		.amdhsa_ieee_mode 1
		.amdhsa_fp16_overflow 0
		.amdhsa_tg_split 0
		.amdhsa_exception_fp_ieee_invalid_op 0
		.amdhsa_exception_fp_denorm_src 0
		.amdhsa_exception_fp_ieee_div_zero 0
		.amdhsa_exception_fp_ieee_overflow 0
		.amdhsa_exception_fp_ieee_underflow 0
		.amdhsa_exception_fp_ieee_inexact 0
		.amdhsa_exception_int_div_zero 0
	.end_amdhsa_kernel
	.section	.text._Z6kernelI10flag_headshLj256ELj3ELb1ELj100EEvPKT0_PS1_,"axG",@progbits,_Z6kernelI10flag_headshLj256ELj3ELb1ELj100EEvPKT0_PS1_,comdat
.Lfunc_end27:
	.size	_Z6kernelI10flag_headshLj256ELj3ELb1ELj100EEvPKT0_PS1_, .Lfunc_end27-_Z6kernelI10flag_headshLj256ELj3ELb1ELj100EEvPKT0_PS1_
                                        ; -- End function
	.section	.AMDGPU.csdata,"",@progbits
; Kernel info:
; codeLenInByte = 316
; NumSgprs: 14
; NumVgprs: 9
; NumAgprs: 0
; TotalNumVgprs: 9
; ScratchSize: 0
; MemoryBound: 0
; FloatMode: 240
; IeeeMode: 1
; LDSByteSize: 512 bytes/workgroup (compile time only)
; SGPRBlocks: 1
; VGPRBlocks: 1
; NumSGPRsForWavesPerEU: 14
; NumVGPRsForWavesPerEU: 9
; AccumOffset: 12
; Occupancy: 8
; WaveLimiterHint : 1
; COMPUTE_PGM_RSRC2:SCRATCH_EN: 0
; COMPUTE_PGM_RSRC2:USER_SGPR: 2
; COMPUTE_PGM_RSRC2:TRAP_HANDLER: 0
; COMPUTE_PGM_RSRC2:TGID_X_EN: 1
; COMPUTE_PGM_RSRC2:TGID_Y_EN: 0
; COMPUTE_PGM_RSRC2:TGID_Z_EN: 0
; COMPUTE_PGM_RSRC2:TIDIG_COMP_CNT: 0
; COMPUTE_PGM_RSRC3_GFX90A:ACCUM_OFFSET: 2
; COMPUTE_PGM_RSRC3_GFX90A:TG_SPLIT: 0
	.section	.text._Z6kernelI10flag_headshLj256ELj4ELb1ELj100EEvPKT0_PS1_,"axG",@progbits,_Z6kernelI10flag_headshLj256ELj4ELb1ELj100EEvPKT0_PS1_,comdat
	.protected	_Z6kernelI10flag_headshLj256ELj4ELb1ELj100EEvPKT0_PS1_ ; -- Begin function _Z6kernelI10flag_headshLj256ELj4ELb1ELj100EEvPKT0_PS1_
	.globl	_Z6kernelI10flag_headshLj256ELj4ELb1ELj100EEvPKT0_PS1_
	.p2align	8
	.type	_Z6kernelI10flag_headshLj256ELj4ELb1ELj100EEvPKT0_PS1_,@function
_Z6kernelI10flag_headshLj256ELj4ELb1ELj100EEvPKT0_PS1_: ; @_Z6kernelI10flag_headshLj256ELj4ELb1ELj100EEvPKT0_PS1_
; %bb.0:
	s_load_dwordx4 s[4:7], s[0:1], 0x0
	s_lshl_b32 s2, s2, 10
	v_mov_b32_e32 v1, 0
	s_movk_i32 s3, 0x64
	v_cmp_ne_u32_e32 vcc, 0, v0
	s_waitcnt lgkmcnt(0)
	s_add_u32 s0, s4, s2
	s_addc_u32 s1, s5, 0
	global_load_ubyte v3, v0, s[0:1] offset:256
	global_load_ubyte v4, v0, s[0:1] offset:768
	global_load_ubyte v5, v0, s[0:1]
	global_load_ubyte v6, v0, s[0:1] offset:512
	v_add_u32_e32 v2, -1, v0
	s_movk_i32 s4, 0xff
	s_waitcnt vmcnt(3)
	v_lshlrev_b16_e32 v3, 8, v3
	s_waitcnt vmcnt(2)
	v_lshlrev_b16_e32 v4, 8, v4
	s_waitcnt vmcnt(1)
	v_or_b32_e32 v3, v5, v3
	s_waitcnt vmcnt(0)
	v_or_b32_sdwa v4, v6, v4 dst_sel:WORD_1 dst_unused:UNUSED_PAD src0_sel:DWORD src1_sel:DWORD
	s_nop 0
	v_or_b32_sdwa v3, v3, v4 dst_sel:DWORD dst_unused:UNUSED_PAD src0_sel:WORD_0 src1_sel:DWORD
	s_branch .LBB28_2
.LBB28_1:                               ;   in Loop: Header=BB28_2 Depth=1
	s_or_b64 exec, exec, s[0:1]
	v_and_b32_sdwa v6, v3, s4 dst_sel:DWORD dst_unused:UNUSED_PAD src0_sel:WORD_1 src1_sel:DWORD
	v_cmp_eq_u16_e64 s[0:1], v6, v4
	v_lshrrev_b32_e32 v7, 8, v3
	s_add_i32 s3, s3, -1
	v_cndmask_b32_e64 v8, 0, 1, s[0:1]
	v_cmp_eq_u16_sdwa s[0:1], v7, v6 src0_sel:BYTE_0 src1_sel:DWORD
	v_add_u16_e32 v4, v4, v8
	v_lshlrev_b16_e32 v8, 8, v4
	v_cndmask_b32_e64 v9, 0, 1, s[0:1]
	v_cmp_eq_u16_sdwa s[0:1], v3, v7 src0_sel:BYTE_0 src1_sel:BYTE_0
	s_cmp_lg_u32 s3, 0
	s_waitcnt lgkmcnt(0)
	v_cndmask_b32_e64 v6, 0, 1, s[0:1]
	v_cmp_eq_u16_sdwa s[0:1], v5, v3 src0_sel:BYTE_0 src1_sel:BYTE_0
	v_add_u16_e32 v6, v7, v6
	v_add_u16_sdwa v7, v3, v9 dst_sel:DWORD dst_unused:UNUSED_PAD src0_sel:WORD_1 src1_sel:DWORD
	v_cndmask_b32_e64 v5, 0, 1, s[0:1]
	v_add_u16_e32 v5, v3, v5
	v_lshlrev_b16_e32 v3, 8, v6
	v_or_b32_sdwa v3, v5, v3 dst_sel:DWORD dst_unused:UNUSED_PAD src0_sel:BYTE_0 src1_sel:DWORD
	v_or_b32_sdwa v8, v7, v8 dst_sel:WORD_1 dst_unused:UNUSED_PAD src0_sel:BYTE_0 src1_sel:DWORD
	s_barrier
	v_or_b32_sdwa v3, v3, v8 dst_sel:DWORD dst_unused:UNUSED_PAD src0_sel:WORD_0 src1_sel:DWORD
	s_cbranch_scc0 .LBB28_4
.LBB28_2:                               ; =>This Inner Loop Header: Depth=1
	v_lshrrev_b32_e32 v4, 24, v3
	v_mov_b32_e32 v5, 0x7b
	ds_write_b8 v0, v4
	s_waitcnt lgkmcnt(0)
	s_barrier
	s_and_saveexec_b64 s[0:1], vcc
	s_cbranch_execz .LBB28_1
; %bb.3:                                ;   in Loop: Header=BB28_2 Depth=1
	ds_read_u8 v5, v2
	s_branch .LBB28_1
.LBB28_4:
	s_add_u32 s0, s6, s2
	s_addc_u32 s1, s7, 0
	v_lshl_add_u64 v[0:1], s[0:1], 0, v[0:1]
	global_store_byte v[0:1], v5, off
	global_store_byte v[0:1], v6, off offset:256
	global_store_byte v[0:1], v7, off offset:512
	;; [unrolled: 1-line block ×3, first 2 shown]
	s_endpgm
	.section	.rodata,"a",@progbits
	.p2align	6, 0x0
	.amdhsa_kernel _Z6kernelI10flag_headshLj256ELj4ELb1ELj100EEvPKT0_PS1_
		.amdhsa_group_segment_fixed_size 512
		.amdhsa_private_segment_fixed_size 0
		.amdhsa_kernarg_size 16
		.amdhsa_user_sgpr_count 2
		.amdhsa_user_sgpr_dispatch_ptr 0
		.amdhsa_user_sgpr_queue_ptr 0
		.amdhsa_user_sgpr_kernarg_segment_ptr 1
		.amdhsa_user_sgpr_dispatch_id 0
		.amdhsa_user_sgpr_kernarg_preload_length 0
		.amdhsa_user_sgpr_kernarg_preload_offset 0
		.amdhsa_user_sgpr_private_segment_size 0
		.amdhsa_uses_dynamic_stack 0
		.amdhsa_enable_private_segment 0
		.amdhsa_system_sgpr_workgroup_id_x 1
		.amdhsa_system_sgpr_workgroup_id_y 0
		.amdhsa_system_sgpr_workgroup_id_z 0
		.amdhsa_system_sgpr_workgroup_info 0
		.amdhsa_system_vgpr_workitem_id 0
		.amdhsa_next_free_vgpr 10
		.amdhsa_next_free_sgpr 8
		.amdhsa_accum_offset 12
		.amdhsa_reserve_vcc 1
		.amdhsa_float_round_mode_32 0
		.amdhsa_float_round_mode_16_64 0
		.amdhsa_float_denorm_mode_32 3
		.amdhsa_float_denorm_mode_16_64 3
		.amdhsa_dx10_clamp 1
		.amdhsa_ieee_mode 1
		.amdhsa_fp16_overflow 0
		.amdhsa_tg_split 0
		.amdhsa_exception_fp_ieee_invalid_op 0
		.amdhsa_exception_fp_denorm_src 0
		.amdhsa_exception_fp_ieee_div_zero 0
		.amdhsa_exception_fp_ieee_overflow 0
		.amdhsa_exception_fp_ieee_underflow 0
		.amdhsa_exception_fp_ieee_inexact 0
		.amdhsa_exception_int_div_zero 0
	.end_amdhsa_kernel
	.section	.text._Z6kernelI10flag_headshLj256ELj4ELb1ELj100EEvPKT0_PS1_,"axG",@progbits,_Z6kernelI10flag_headshLj256ELj4ELb1ELj100EEvPKT0_PS1_,comdat
.Lfunc_end28:
	.size	_Z6kernelI10flag_headshLj256ELj4ELb1ELj100EEvPKT0_PS1_, .Lfunc_end28-_Z6kernelI10flag_headshLj256ELj4ELb1ELj100EEvPKT0_PS1_
                                        ; -- End function
	.section	.AMDGPU.csdata,"",@progbits
; Kernel info:
; codeLenInByte = 380
; NumSgprs: 14
; NumVgprs: 10
; NumAgprs: 0
; TotalNumVgprs: 10
; ScratchSize: 0
; MemoryBound: 0
; FloatMode: 240
; IeeeMode: 1
; LDSByteSize: 512 bytes/workgroup (compile time only)
; SGPRBlocks: 1
; VGPRBlocks: 1
; NumSGPRsForWavesPerEU: 14
; NumVGPRsForWavesPerEU: 10
; AccumOffset: 12
; Occupancy: 8
; WaveLimiterHint : 1
; COMPUTE_PGM_RSRC2:SCRATCH_EN: 0
; COMPUTE_PGM_RSRC2:USER_SGPR: 2
; COMPUTE_PGM_RSRC2:TRAP_HANDLER: 0
; COMPUTE_PGM_RSRC2:TGID_X_EN: 1
; COMPUTE_PGM_RSRC2:TGID_Y_EN: 0
; COMPUTE_PGM_RSRC2:TGID_Z_EN: 0
; COMPUTE_PGM_RSRC2:TIDIG_COMP_CNT: 0
; COMPUTE_PGM_RSRC3_GFX90A:ACCUM_OFFSET: 2
; COMPUTE_PGM_RSRC3_GFX90A:TG_SPLIT: 0
	.section	.text._Z6kernelI10flag_headshLj256ELj8ELb1ELj100EEvPKT0_PS1_,"axG",@progbits,_Z6kernelI10flag_headshLj256ELj8ELb1ELj100EEvPKT0_PS1_,comdat
	.protected	_Z6kernelI10flag_headshLj256ELj8ELb1ELj100EEvPKT0_PS1_ ; -- Begin function _Z6kernelI10flag_headshLj256ELj8ELb1ELj100EEvPKT0_PS1_
	.globl	_Z6kernelI10flag_headshLj256ELj8ELb1ELj100EEvPKT0_PS1_
	.p2align	8
	.type	_Z6kernelI10flag_headshLj256ELj8ELb1ELj100EEvPKT0_PS1_,@function
_Z6kernelI10flag_headshLj256ELj8ELb1ELj100EEvPKT0_PS1_: ; @_Z6kernelI10flag_headshLj256ELj8ELb1ELj100EEvPKT0_PS1_
; %bb.0:
	s_load_dwordx4 s[4:7], s[0:1], 0x0
	s_lshl_b32 s2, s2, 11
	v_mov_b32_e32 v1, 0
	s_movk_i32 s3, 0x64
	v_cmp_ne_u32_e32 vcc, 0, v0
	s_waitcnt lgkmcnt(0)
	s_add_u32 s0, s4, s2
	s_addc_u32 s1, s5, 0
	global_load_ubyte v2, v0, s[0:1] offset:256
	global_load_ubyte v3, v0, s[0:1] offset:768
	;; [unrolled: 1-line block ×4, first 2 shown]
	global_load_ubyte v7, v0, s[0:1]
	global_load_ubyte v8, v0, s[0:1] offset:512
	global_load_ubyte v9, v0, s[0:1] offset:1024
	global_load_ubyte v10, v0, s[0:1] offset:1536
	v_add_u32_e32 v4, -1, v0
	s_movk_i32 s4, 0xff
	s_waitcnt vmcnt(7)
	v_lshlrev_b16_e32 v2, 8, v2
	s_waitcnt vmcnt(6)
	v_lshlrev_b16_e32 v3, 8, v3
	;; [unrolled: 2-line block ×4, first 2 shown]
	s_waitcnt vmcnt(3)
	v_or_b32_e32 v2, v7, v2
	s_waitcnt vmcnt(2)
	v_or_b32_sdwa v3, v8, v3 dst_sel:WORD_1 dst_unused:UNUSED_PAD src0_sel:DWORD src1_sel:DWORD
	s_waitcnt vmcnt(1)
	v_or_b32_e32 v5, v9, v5
	s_waitcnt vmcnt(0)
	v_or_b32_sdwa v6, v10, v6 dst_sel:WORD_1 dst_unused:UNUSED_PAD src0_sel:DWORD src1_sel:DWORD
	v_or_b32_sdwa v2, v2, v3 dst_sel:DWORD dst_unused:UNUSED_PAD src0_sel:WORD_0 src1_sel:DWORD
	v_or_b32_sdwa v3, v5, v6 dst_sel:DWORD dst_unused:UNUSED_PAD src0_sel:WORD_0 src1_sel:DWORD
	s_branch .LBB29_2
.LBB29_1:                               ;   in Loop: Header=BB29_2 Depth=1
	s_or_b64 exec, exec, s[0:1]
	v_and_b32_sdwa v7, v3, s4 dst_sel:DWORD dst_unused:UNUSED_PAD src0_sel:WORD_1 src1_sel:DWORD
	v_cmp_eq_u16_e64 s[0:1], v7, v5
	v_lshrrev_b32_e32 v12, 8, v3
	v_lshrrev_b64 v[10:11], 24, v[2:3]
	v_cndmask_b32_e64 v13, 0, 1, s[0:1]
	v_cmp_eq_u16_sdwa s[0:1], v12, v7 src0_sel:BYTE_0 src1_sel:DWORD
	v_and_b32_sdwa v7, v2, s4 dst_sel:DWORD dst_unused:UNUSED_PAD src0_sel:WORD_1 src1_sel:DWORD
	v_lshrrev_b32_e32 v8, 8, v2
	v_cndmask_b32_e64 v14, 0, 1, s[0:1]
	v_cmp_eq_u16_sdwa s[0:1], v3, v12 src0_sel:BYTE_0 src1_sel:BYTE_0
	v_add_u16_e32 v5, v5, v13
	v_lshlrev_b16_e32 v13, 8, v5
	v_cndmask_b32_e64 v15, 0, 1, s[0:1]
	v_cmp_eq_u16_sdwa s[0:1], v10, v3 src0_sel:BYTE_0 src1_sel:BYTE_0
	s_add_i32 s3, s3, -1
	s_cmp_lg_u32 s3, 0
	v_cndmask_b32_e64 v11, 0, 1, s[0:1]
	v_cmp_eq_u16_sdwa s[0:1], v7, v10 src0_sel:DWORD src1_sel:BYTE_0
	s_waitcnt lgkmcnt(0)
	s_barrier
	v_cndmask_b32_e64 v9, 0, 1, s[0:1]
	v_cmp_eq_u16_sdwa s[0:1], v8, v7 src0_sel:BYTE_0 src1_sel:DWORD
	v_add_u16_e32 v9, v10, v9
	v_add_u16_e32 v10, v3, v11
	v_cndmask_b32_e64 v16, 0, 1, s[0:1]
	v_cmp_eq_u16_sdwa s[0:1], v2, v8 src0_sel:BYTE_0 src1_sel:BYTE_0
	v_add_u16_e32 v11, v12, v15
	v_add_u16_sdwa v12, v3, v14 dst_sel:DWORD dst_unused:UNUSED_PAD src0_sel:WORD_1 src1_sel:DWORD
	v_cndmask_b32_e64 v7, 0, 1, s[0:1]
	v_cmp_eq_u16_sdwa s[0:1], v6, v2 src0_sel:BYTE_0 src1_sel:BYTE_0
	v_add_u16_e32 v7, v8, v7
	v_add_u16_sdwa v8, v2, v16 dst_sel:DWORD dst_unused:UNUSED_PAD src0_sel:WORD_1 src1_sel:DWORD
	v_cndmask_b32_e64 v6, 0, 1, s[0:1]
	v_add_u16_e32 v6, v2, v6
	v_lshlrev_b16_e32 v2, 8, v7
	v_lshlrev_b16_e32 v3, 8, v9
	v_or_b32_sdwa v2, v6, v2 dst_sel:DWORD dst_unused:UNUSED_PAD src0_sel:BYTE_0 src1_sel:DWORD
	v_or_b32_sdwa v3, v8, v3 dst_sel:WORD_1 dst_unused:UNUSED_PAD src0_sel:BYTE_0 src1_sel:DWORD
	v_or_b32_sdwa v13, v12, v13 dst_sel:WORD_1 dst_unused:UNUSED_PAD src0_sel:BYTE_0 src1_sel:DWORD
	v_or_b32_sdwa v2, v2, v3 dst_sel:DWORD dst_unused:UNUSED_PAD src0_sel:WORD_0 src1_sel:DWORD
	v_lshlrev_b16_e32 v3, 8, v11
	v_or_b32_sdwa v3, v10, v3 dst_sel:DWORD dst_unused:UNUSED_PAD src0_sel:BYTE_0 src1_sel:DWORD
	v_or_b32_sdwa v3, v3, v13 dst_sel:DWORD dst_unused:UNUSED_PAD src0_sel:WORD_0 src1_sel:DWORD
	s_cbranch_scc0 .LBB29_4
.LBB29_2:                               ; =>This Inner Loop Header: Depth=1
	v_lshrrev_b32_e32 v5, 24, v3
	v_mov_b32_e32 v6, 0x7b
	ds_write_b8 v0, v5
	s_waitcnt lgkmcnt(0)
	s_barrier
	s_and_saveexec_b64 s[0:1], vcc
	s_cbranch_execz .LBB29_1
; %bb.3:                                ;   in Loop: Header=BB29_2 Depth=1
	ds_read_u8 v6, v4
	s_branch .LBB29_1
.LBB29_4:
	s_add_u32 s0, s6, s2
	s_addc_u32 s1, s7, 0
	v_lshl_add_u64 v[0:1], s[0:1], 0, v[0:1]
	global_store_byte v[0:1], v6, off
	global_store_byte v[0:1], v7, off offset:256
	global_store_byte v[0:1], v8, off offset:512
	;; [unrolled: 1-line block ×7, first 2 shown]
	s_endpgm
	.section	.rodata,"a",@progbits
	.p2align	6, 0x0
	.amdhsa_kernel _Z6kernelI10flag_headshLj256ELj8ELb1ELj100EEvPKT0_PS1_
		.amdhsa_group_segment_fixed_size 512
		.amdhsa_private_segment_fixed_size 0
		.amdhsa_kernarg_size 16
		.amdhsa_user_sgpr_count 2
		.amdhsa_user_sgpr_dispatch_ptr 0
		.amdhsa_user_sgpr_queue_ptr 0
		.amdhsa_user_sgpr_kernarg_segment_ptr 1
		.amdhsa_user_sgpr_dispatch_id 0
		.amdhsa_user_sgpr_kernarg_preload_length 0
		.amdhsa_user_sgpr_kernarg_preload_offset 0
		.amdhsa_user_sgpr_private_segment_size 0
		.amdhsa_uses_dynamic_stack 0
		.amdhsa_enable_private_segment 0
		.amdhsa_system_sgpr_workgroup_id_x 1
		.amdhsa_system_sgpr_workgroup_id_y 0
		.amdhsa_system_sgpr_workgroup_id_z 0
		.amdhsa_system_sgpr_workgroup_info 0
		.amdhsa_system_vgpr_workitem_id 0
		.amdhsa_next_free_vgpr 17
		.amdhsa_next_free_sgpr 8
		.amdhsa_accum_offset 20
		.amdhsa_reserve_vcc 1
		.amdhsa_float_round_mode_32 0
		.amdhsa_float_round_mode_16_64 0
		.amdhsa_float_denorm_mode_32 3
		.amdhsa_float_denorm_mode_16_64 3
		.amdhsa_dx10_clamp 1
		.amdhsa_ieee_mode 1
		.amdhsa_fp16_overflow 0
		.amdhsa_tg_split 0
		.amdhsa_exception_fp_ieee_invalid_op 0
		.amdhsa_exception_fp_denorm_src 0
		.amdhsa_exception_fp_ieee_div_zero 0
		.amdhsa_exception_fp_ieee_overflow 0
		.amdhsa_exception_fp_ieee_underflow 0
		.amdhsa_exception_fp_ieee_inexact 0
		.amdhsa_exception_int_div_zero 0
	.end_amdhsa_kernel
	.section	.text._Z6kernelI10flag_headshLj256ELj8ELb1ELj100EEvPKT0_PS1_,"axG",@progbits,_Z6kernelI10flag_headshLj256ELj8ELb1ELj100EEvPKT0_PS1_,comdat
.Lfunc_end29:
	.size	_Z6kernelI10flag_headshLj256ELj8ELb1ELj100EEvPKT0_PS1_, .Lfunc_end29-_Z6kernelI10flag_headshLj256ELj8ELb1ELj100EEvPKT0_PS1_
                                        ; -- End function
	.section	.AMDGPU.csdata,"",@progbits
; Kernel info:
; codeLenInByte = 620
; NumSgprs: 14
; NumVgprs: 17
; NumAgprs: 0
; TotalNumVgprs: 17
; ScratchSize: 0
; MemoryBound: 0
; FloatMode: 240
; IeeeMode: 1
; LDSByteSize: 512 bytes/workgroup (compile time only)
; SGPRBlocks: 1
; VGPRBlocks: 2
; NumSGPRsForWavesPerEU: 14
; NumVGPRsForWavesPerEU: 17
; AccumOffset: 20
; Occupancy: 8
; WaveLimiterHint : 1
; COMPUTE_PGM_RSRC2:SCRATCH_EN: 0
; COMPUTE_PGM_RSRC2:USER_SGPR: 2
; COMPUTE_PGM_RSRC2:TRAP_HANDLER: 0
; COMPUTE_PGM_RSRC2:TGID_X_EN: 1
; COMPUTE_PGM_RSRC2:TGID_Y_EN: 0
; COMPUTE_PGM_RSRC2:TGID_Z_EN: 0
; COMPUTE_PGM_RSRC2:TIDIG_COMP_CNT: 0
; COMPUTE_PGM_RSRC3_GFX90A:ACCUM_OFFSET: 4
; COMPUTE_PGM_RSRC3_GFX90A:TG_SPLIT: 0
	.section	.text._Z6kernelI10flag_headsxLj256ELj1ELb0ELj100EEvPKT0_PS1_,"axG",@progbits,_Z6kernelI10flag_headsxLj256ELj1ELb0ELj100EEvPKT0_PS1_,comdat
	.protected	_Z6kernelI10flag_headsxLj256ELj1ELb0ELj100EEvPKT0_PS1_ ; -- Begin function _Z6kernelI10flag_headsxLj256ELj1ELb0ELj100EEvPKT0_PS1_
	.globl	_Z6kernelI10flag_headsxLj256ELj1ELb0ELj100EEvPKT0_PS1_
	.p2align	8
	.type	_Z6kernelI10flag_headsxLj256ELj1ELb0ELj100EEvPKT0_PS1_,@function
_Z6kernelI10flag_headsxLj256ELj1ELb0ELj100EEvPKT0_PS1_: ; @_Z6kernelI10flag_headsxLj256ELj1ELb0ELj100EEvPKT0_PS1_
; %bb.0:
	s_load_dwordx4 s[4:7], s[0:1], 0x0
	s_lshl_b32 s2, s2, 8
	s_mov_b32 s3, 0
	s_lshl_b64 s[8:9], s[2:3], 3
	v_lshlrev_b32_e32 v1, 3, v0
	s_waitcnt lgkmcnt(0)
	s_add_u32 s0, s4, s8
	s_addc_u32 s1, s5, s9
	global_load_dwordx2 v[2:3], v1, s[0:1]
	v_cmp_ne_u32_e32 vcc, 0, v0
	v_add_u32_e32 v6, -8, v1
	s_movk_i32 s2, 0x64
	s_branch .LBB30_2
.LBB30_1:                               ;   in Loop: Header=BB30_2 Depth=1
	s_or_b64 exec, exec, s[4:5]
	s_add_i32 s2, s2, -1
	v_lshl_add_u64 v[2:3], v[4:5], 0, v[2:3]
	s_cmp_lg_u32 s2, 0
	s_barrier
	s_cbranch_scc0 .LBB30_4
.LBB30_2:                               ; =>This Inner Loop Header: Depth=1
	v_mov_b64_e32 v[4:5], 1
	s_waitcnt vmcnt(0)
	ds_write_b64 v1, v[2:3]
	s_waitcnt lgkmcnt(0)
	s_barrier
	s_and_saveexec_b64 s[4:5], vcc
	s_cbranch_execz .LBB30_1
; %bb.3:                                ;   in Loop: Header=BB30_2 Depth=1
	ds_read_b64 v[4:5], v6
	s_waitcnt lgkmcnt(0)
	v_cmp_eq_u64_e64 s[0:1], v[4:5], v[2:3]
	s_nop 1
	v_cndmask_b32_e64 v4, 0, 1, s[0:1]
	v_mov_b32_e32 v5, s3
	s_branch .LBB30_1
.LBB30_4:
	s_add_u32 s0, s6, s8
	s_addc_u32 s1, s7, s9
	v_lshlrev_b32_e32 v0, 3, v0
	global_store_dwordx2 v0, v[2:3], s[0:1]
	s_endpgm
	.section	.rodata,"a",@progbits
	.p2align	6, 0x0
	.amdhsa_kernel _Z6kernelI10flag_headsxLj256ELj1ELb0ELj100EEvPKT0_PS1_
		.amdhsa_group_segment_fixed_size 4096
		.amdhsa_private_segment_fixed_size 0
		.amdhsa_kernarg_size 16
		.amdhsa_user_sgpr_count 2
		.amdhsa_user_sgpr_dispatch_ptr 0
		.amdhsa_user_sgpr_queue_ptr 0
		.amdhsa_user_sgpr_kernarg_segment_ptr 1
		.amdhsa_user_sgpr_dispatch_id 0
		.amdhsa_user_sgpr_kernarg_preload_length 0
		.amdhsa_user_sgpr_kernarg_preload_offset 0
		.amdhsa_user_sgpr_private_segment_size 0
		.amdhsa_uses_dynamic_stack 0
		.amdhsa_enable_private_segment 0
		.amdhsa_system_sgpr_workgroup_id_x 1
		.amdhsa_system_sgpr_workgroup_id_y 0
		.amdhsa_system_sgpr_workgroup_id_z 0
		.amdhsa_system_sgpr_workgroup_info 0
		.amdhsa_system_vgpr_workitem_id 0
		.amdhsa_next_free_vgpr 7
		.amdhsa_next_free_sgpr 10
		.amdhsa_accum_offset 8
		.amdhsa_reserve_vcc 1
		.amdhsa_float_round_mode_32 0
		.amdhsa_float_round_mode_16_64 0
		.amdhsa_float_denorm_mode_32 3
		.amdhsa_float_denorm_mode_16_64 3
		.amdhsa_dx10_clamp 1
		.amdhsa_ieee_mode 1
		.amdhsa_fp16_overflow 0
		.amdhsa_tg_split 0
		.amdhsa_exception_fp_ieee_invalid_op 0
		.amdhsa_exception_fp_denorm_src 0
		.amdhsa_exception_fp_ieee_div_zero 0
		.amdhsa_exception_fp_ieee_overflow 0
		.amdhsa_exception_fp_ieee_underflow 0
		.amdhsa_exception_fp_ieee_inexact 0
		.amdhsa_exception_int_div_zero 0
	.end_amdhsa_kernel
	.section	.text._Z6kernelI10flag_headsxLj256ELj1ELb0ELj100EEvPKT0_PS1_,"axG",@progbits,_Z6kernelI10flag_headsxLj256ELj1ELb0ELj100EEvPKT0_PS1_,comdat
.Lfunc_end30:
	.size	_Z6kernelI10flag_headsxLj256ELj1ELb0ELj100EEvPKT0_PS1_, .Lfunc_end30-_Z6kernelI10flag_headsxLj256ELj1ELb0ELj100EEvPKT0_PS1_
                                        ; -- End function
	.section	.AMDGPU.csdata,"",@progbits
; Kernel info:
; codeLenInByte = 184
; NumSgprs: 16
; NumVgprs: 7
; NumAgprs: 0
; TotalNumVgprs: 7
; ScratchSize: 0
; MemoryBound: 0
; FloatMode: 240
; IeeeMode: 1
; LDSByteSize: 4096 bytes/workgroup (compile time only)
; SGPRBlocks: 1
; VGPRBlocks: 0
; NumSGPRsForWavesPerEU: 16
; NumVGPRsForWavesPerEU: 7
; AccumOffset: 8
; Occupancy: 8
; WaveLimiterHint : 0
; COMPUTE_PGM_RSRC2:SCRATCH_EN: 0
; COMPUTE_PGM_RSRC2:USER_SGPR: 2
; COMPUTE_PGM_RSRC2:TRAP_HANDLER: 0
; COMPUTE_PGM_RSRC2:TGID_X_EN: 1
; COMPUTE_PGM_RSRC2:TGID_Y_EN: 0
; COMPUTE_PGM_RSRC2:TGID_Z_EN: 0
; COMPUTE_PGM_RSRC2:TIDIG_COMP_CNT: 0
; COMPUTE_PGM_RSRC3_GFX90A:ACCUM_OFFSET: 1
; COMPUTE_PGM_RSRC3_GFX90A:TG_SPLIT: 0
	.section	.text._Z6kernelI10flag_headsxLj256ELj2ELb0ELj100EEvPKT0_PS1_,"axG",@progbits,_Z6kernelI10flag_headsxLj256ELj2ELb0ELj100EEvPKT0_PS1_,comdat
	.protected	_Z6kernelI10flag_headsxLj256ELj2ELb0ELj100EEvPKT0_PS1_ ; -- Begin function _Z6kernelI10flag_headsxLj256ELj2ELb0ELj100EEvPKT0_PS1_
	.globl	_Z6kernelI10flag_headsxLj256ELj2ELb0ELj100EEvPKT0_PS1_
	.p2align	8
	.type	_Z6kernelI10flag_headsxLj256ELj2ELb0ELj100EEvPKT0_PS1_,@function
_Z6kernelI10flag_headsxLj256ELj2ELb0ELj100EEvPKT0_PS1_: ; @_Z6kernelI10flag_headsxLj256ELj2ELb0ELj100EEvPKT0_PS1_
; %bb.0:
	s_load_dwordx4 s[4:7], s[0:1], 0x0
	s_lshl_b32 s0, s2, 9
	s_mov_b32 s1, 0
	s_lshl_b64 s[2:3], s[0:1], 3
	v_lshlrev_b32_e32 v1, 3, v0
	s_waitcnt lgkmcnt(0)
	s_add_u32 s0, s4, s2
	s_addc_u32 s1, s5, s3
	global_load_dwordx2 v[2:3], v1, s[0:1]
	global_load_dwordx2 v[4:5], v1, s[0:1] offset:2048
	v_mov_b32_e32 v7, 0
	v_cmp_ne_u32_e32 vcc, 0, v0
	v_add_u32_e32 v8, -8, v1
	s_movk_i32 s8, 0x64
	s_branch .LBB31_2
.LBB31_1:                               ;   in Loop: Header=BB31_2 Depth=1
	s_or_b64 exec, exec, s[4:5]
	v_and_b32_e32 v6, 0xff, v9
	v_lshl_add_u64 v[2:3], v[2:3], 0, v[6:7]
	v_lshrrev_b16_e32 v6, 8, v9
	s_add_i32 s8, s8, -1
	v_lshl_add_u64 v[4:5], v[4:5], 0, v[6:7]
	s_cmp_lg_u32 s8, 0
	s_barrier
	s_cbranch_scc0 .LBB31_4
.LBB31_2:                               ; =>This Inner Loop Header: Depth=1
	s_waitcnt vmcnt(0)
	v_cmp_eq_u64_e64 s[0:1], v[2:3], v[4:5]
	ds_write_b64 v1, v[4:5]
	s_waitcnt lgkmcnt(0)
	v_cndmask_b32_e64 v6, 0, 1, s[0:1]
	v_lshlrev_b16_e32 v6, 8, v6
	v_or_b32_e32 v6, 1, v6
	v_and_b32_e32 v9, 0xffff, v6
	s_barrier
	s_and_saveexec_b64 s[4:5], vcc
	s_cbranch_execz .LBB31_1
; %bb.3:                                ;   in Loop: Header=BB31_2 Depth=1
	ds_read_b64 v[10:11], v8
	v_and_b32_e32 v6, 0x100, v9
	s_waitcnt lgkmcnt(0)
	v_cmp_eq_u64_e64 s[0:1], v[10:11], v[2:3]
	s_nop 1
	v_cndmask_b32_e64 v9, 0, 1, s[0:1]
	v_or_b32_e32 v6, v9, v6
	v_and_b32_e32 v9, 0xffff, v6
	s_branch .LBB31_1
.LBB31_4:
	s_add_u32 s0, s6, s2
	s_addc_u32 s1, s7, s3
	v_lshlrev_b32_e32 v0, 3, v0
	global_store_dwordx2 v0, v[2:3], s[0:1]
	global_store_dwordx2 v0, v[4:5], s[0:1] offset:2048
	s_endpgm
	.section	.rodata,"a",@progbits
	.p2align	6, 0x0
	.amdhsa_kernel _Z6kernelI10flag_headsxLj256ELj2ELb0ELj100EEvPKT0_PS1_
		.amdhsa_group_segment_fixed_size 4096
		.amdhsa_private_segment_fixed_size 0
		.amdhsa_kernarg_size 16
		.amdhsa_user_sgpr_count 2
		.amdhsa_user_sgpr_dispatch_ptr 0
		.amdhsa_user_sgpr_queue_ptr 0
		.amdhsa_user_sgpr_kernarg_segment_ptr 1
		.amdhsa_user_sgpr_dispatch_id 0
		.amdhsa_user_sgpr_kernarg_preload_length 0
		.amdhsa_user_sgpr_kernarg_preload_offset 0
		.amdhsa_user_sgpr_private_segment_size 0
		.amdhsa_uses_dynamic_stack 0
		.amdhsa_enable_private_segment 0
		.amdhsa_system_sgpr_workgroup_id_x 1
		.amdhsa_system_sgpr_workgroup_id_y 0
		.amdhsa_system_sgpr_workgroup_id_z 0
		.amdhsa_system_sgpr_workgroup_info 0
		.amdhsa_system_vgpr_workitem_id 0
		.amdhsa_next_free_vgpr 12
		.amdhsa_next_free_sgpr 9
		.amdhsa_accum_offset 12
		.amdhsa_reserve_vcc 1
		.amdhsa_float_round_mode_32 0
		.amdhsa_float_round_mode_16_64 0
		.amdhsa_float_denorm_mode_32 3
		.amdhsa_float_denorm_mode_16_64 3
		.amdhsa_dx10_clamp 1
		.amdhsa_ieee_mode 1
		.amdhsa_fp16_overflow 0
		.amdhsa_tg_split 0
		.amdhsa_exception_fp_ieee_invalid_op 0
		.amdhsa_exception_fp_denorm_src 0
		.amdhsa_exception_fp_ieee_div_zero 0
		.amdhsa_exception_fp_ieee_overflow 0
		.amdhsa_exception_fp_ieee_underflow 0
		.amdhsa_exception_fp_ieee_inexact 0
		.amdhsa_exception_int_div_zero 0
	.end_amdhsa_kernel
	.section	.text._Z6kernelI10flag_headsxLj256ELj2ELb0ELj100EEvPKT0_PS1_,"axG",@progbits,_Z6kernelI10flag_headsxLj256ELj2ELb0ELj100EEvPKT0_PS1_,comdat
.Lfunc_end31:
	.size	_Z6kernelI10flag_headsxLj256ELj2ELb0ELj100EEvPKT0_PS1_, .Lfunc_end31-_Z6kernelI10flag_headsxLj256ELj2ELb0ELj100EEvPKT0_PS1_
                                        ; -- End function
	.section	.AMDGPU.csdata,"",@progbits
; Kernel info:
; codeLenInByte = 268
; NumSgprs: 15
; NumVgprs: 12
; NumAgprs: 0
; TotalNumVgprs: 12
; ScratchSize: 0
; MemoryBound: 0
; FloatMode: 240
; IeeeMode: 1
; LDSByteSize: 4096 bytes/workgroup (compile time only)
; SGPRBlocks: 1
; VGPRBlocks: 1
; NumSGPRsForWavesPerEU: 15
; NumVGPRsForWavesPerEU: 12
; AccumOffset: 12
; Occupancy: 8
; WaveLimiterHint : 1
; COMPUTE_PGM_RSRC2:SCRATCH_EN: 0
; COMPUTE_PGM_RSRC2:USER_SGPR: 2
; COMPUTE_PGM_RSRC2:TRAP_HANDLER: 0
; COMPUTE_PGM_RSRC2:TGID_X_EN: 1
; COMPUTE_PGM_RSRC2:TGID_Y_EN: 0
; COMPUTE_PGM_RSRC2:TGID_Z_EN: 0
; COMPUTE_PGM_RSRC2:TIDIG_COMP_CNT: 0
; COMPUTE_PGM_RSRC3_GFX90A:ACCUM_OFFSET: 2
; COMPUTE_PGM_RSRC3_GFX90A:TG_SPLIT: 0
	.section	.text._Z6kernelI10flag_headsxLj256ELj3ELb0ELj100EEvPKT0_PS1_,"axG",@progbits,_Z6kernelI10flag_headsxLj256ELj3ELb0ELj100EEvPKT0_PS1_,comdat
	.protected	_Z6kernelI10flag_headsxLj256ELj3ELb0ELj100EEvPKT0_PS1_ ; -- Begin function _Z6kernelI10flag_headsxLj256ELj3ELb0ELj100EEvPKT0_PS1_
	.globl	_Z6kernelI10flag_headsxLj256ELj3ELb0ELj100EEvPKT0_PS1_
	.p2align	8
	.type	_Z6kernelI10flag_headsxLj256ELj3ELb0ELj100EEvPKT0_PS1_,@function
_Z6kernelI10flag_headsxLj256ELj3ELb0ELj100EEvPKT0_PS1_: ; @_Z6kernelI10flag_headsxLj256ELj3ELb0ELj100EEvPKT0_PS1_
; %bb.0:
	s_load_dwordx4 s[4:7], s[0:1], 0x0
	s_mul_i32 s0, s2, 0x300
	s_mov_b32 s1, 0
	s_lshl_b64 s[2:3], s[0:1], 3
	v_mov_b32_e32 v7, 0
	s_waitcnt lgkmcnt(0)
	s_add_u32 s0, s4, s2
	s_addc_u32 s1, s5, s3
	v_lshlrev_b32_e32 v10, 3, v0
	v_mov_b32_e32 v11, v7
	v_lshl_add_u64 v[4:5], s[0:1], 0, v[10:11]
	s_movk_i32 s4, 0x1000
	v_add_co_u32_e32 v12, vcc, s4, v4
	global_load_dwordx2 v[2:3], v10, s[0:1] offset:2048
	s_nop 0
	v_addc_co_u32_e32 v13, vcc, 0, v5, vcc
	global_load_dwordx2 v[8:9], v10, s[0:1]
	global_load_dwordx2 v[4:5], v[12:13], off
	v_cmp_ne_u32_e32 vcc, 0, v0
	v_add_u32_e32 v1, -8, v10
	s_movk_i32 s8, 0x64
	s_mov_b32 s9, 0x10000
	v_mov_b32_e32 v11, 8
	s_branch .LBB32_2
.LBB32_1:                               ;   in Loop: Header=BB32_2 Depth=1
	s_or_b64 exec, exec, s[4:5]
	v_and_b32_e32 v6, 0xff, v12
	v_lshrrev_b32_e32 v14, 16, v12
	v_lshl_add_u64 v[8:9], v[8:9], 0, v[6:7]
	v_bfe_u32 v6, v12, 8, 8
	v_mov_b32_e32 v15, v7
	s_add_i32 s8, s8, -1
	v_lshl_add_u64 v[2:3], v[2:3], 0, v[6:7]
	v_lshl_add_u64 v[4:5], v[4:5], 0, v[14:15]
	s_cmp_lg_u32 s8, 0
	s_barrier
	s_cbranch_scc0 .LBB32_4
.LBB32_2:                               ; =>This Inner Loop Header: Depth=1
	s_waitcnt vmcnt(1)
	v_cmp_eq_u64_e64 s[0:1], v[8:9], v[2:3]
	s_waitcnt vmcnt(0)
	ds_write_b64 v10, v[4:5]
	s_waitcnt lgkmcnt(0)
	v_cndmask_b32_e64 v6, 0, 1, s[0:1]
	v_lshlrev_b16_e32 v6, 8, v6
	v_or_b32_e32 v6, 1, v6
	v_cmp_eq_u64_e64 s[0:1], v[2:3], v[4:5]
	v_and_b32_e32 v6, 0xffff, v6
	s_barrier
	v_cndmask_b32_e64 v12, 0, 1, s[0:1]
	v_lshl_or_b32 v12, v12, 16, v6
	s_and_saveexec_b64 s[4:5], vcc
	s_cbranch_execz .LBB32_1
; %bb.3:                                ;   in Loop: Header=BB32_2 Depth=1
	ds_read_b64 v[14:15], v1
	v_lshrrev_b32_sdwa v13, v11, v12 dst_sel:BYTE_1 dst_unused:UNUSED_PAD src0_sel:DWORD src1_sel:DWORD
	s_waitcnt lgkmcnt(0)
	v_cmp_eq_u64_e64 s[0:1], v[14:15], v[8:9]
	s_nop 1
	v_cndmask_b32_e64 v6, 0, 1, s[0:1]
	v_or_b32_e32 v6, v6, v13
	v_and_b32_e32 v6, 0xffff, v6
	v_and_or_b32 v12, v12, s9, v6
	s_branch .LBB32_1
.LBB32_4:
	s_add_u32 s0, s6, s2
	s_addc_u32 s1, s7, s3
	v_lshlrev_b32_e32 v0, 3, v0
	v_mov_b32_e32 v1, 0
	v_lshl_add_u64 v[6:7], s[0:1], 0, v[0:1]
	global_store_dwordx2 v0, v[8:9], s[0:1]
	global_store_dwordx2 v0, v[2:3], s[0:1] offset:2048
	v_add_co_u32_e32 v0, vcc, 0x1000, v6
	s_nop 1
	v_addc_co_u32_e32 v1, vcc, 0, v7, vcc
	global_store_dwordx2 v[0:1], v[4:5], off
	s_endpgm
	.section	.rodata,"a",@progbits
	.p2align	6, 0x0
	.amdhsa_kernel _Z6kernelI10flag_headsxLj256ELj3ELb0ELj100EEvPKT0_PS1_
		.amdhsa_group_segment_fixed_size 4096
		.amdhsa_private_segment_fixed_size 0
		.amdhsa_kernarg_size 16
		.amdhsa_user_sgpr_count 2
		.amdhsa_user_sgpr_dispatch_ptr 0
		.amdhsa_user_sgpr_queue_ptr 0
		.amdhsa_user_sgpr_kernarg_segment_ptr 1
		.amdhsa_user_sgpr_dispatch_id 0
		.amdhsa_user_sgpr_kernarg_preload_length 0
		.amdhsa_user_sgpr_kernarg_preload_offset 0
		.amdhsa_user_sgpr_private_segment_size 0
		.amdhsa_uses_dynamic_stack 0
		.amdhsa_enable_private_segment 0
		.amdhsa_system_sgpr_workgroup_id_x 1
		.amdhsa_system_sgpr_workgroup_id_y 0
		.amdhsa_system_sgpr_workgroup_id_z 0
		.amdhsa_system_sgpr_workgroup_info 0
		.amdhsa_system_vgpr_workitem_id 0
		.amdhsa_next_free_vgpr 16
		.amdhsa_next_free_sgpr 10
		.amdhsa_accum_offset 16
		.amdhsa_reserve_vcc 1
		.amdhsa_float_round_mode_32 0
		.amdhsa_float_round_mode_16_64 0
		.amdhsa_float_denorm_mode_32 3
		.amdhsa_float_denorm_mode_16_64 3
		.amdhsa_dx10_clamp 1
		.amdhsa_ieee_mode 1
		.amdhsa_fp16_overflow 0
		.amdhsa_tg_split 0
		.amdhsa_exception_fp_ieee_invalid_op 0
		.amdhsa_exception_fp_denorm_src 0
		.amdhsa_exception_fp_ieee_div_zero 0
		.amdhsa_exception_fp_ieee_overflow 0
		.amdhsa_exception_fp_ieee_underflow 0
		.amdhsa_exception_fp_ieee_inexact 0
		.amdhsa_exception_int_div_zero 0
	.end_amdhsa_kernel
	.section	.text._Z6kernelI10flag_headsxLj256ELj3ELb0ELj100EEvPKT0_PS1_,"axG",@progbits,_Z6kernelI10flag_headsxLj256ELj3ELb0ELj100EEvPKT0_PS1_,comdat
.Lfunc_end32:
	.size	_Z6kernelI10flag_headsxLj256ELj3ELb0ELj100EEvPKT0_PS1_, .Lfunc_end32-_Z6kernelI10flag_headsxLj256ELj3ELb0ELj100EEvPKT0_PS1_
                                        ; -- End function
	.section	.AMDGPU.csdata,"",@progbits
; Kernel info:
; codeLenInByte = 412
; NumSgprs: 16
; NumVgprs: 16
; NumAgprs: 0
; TotalNumVgprs: 16
; ScratchSize: 0
; MemoryBound: 0
; FloatMode: 240
; IeeeMode: 1
; LDSByteSize: 4096 bytes/workgroup (compile time only)
; SGPRBlocks: 1
; VGPRBlocks: 1
; NumSGPRsForWavesPerEU: 16
; NumVGPRsForWavesPerEU: 16
; AccumOffset: 16
; Occupancy: 8
; WaveLimiterHint : 1
; COMPUTE_PGM_RSRC2:SCRATCH_EN: 0
; COMPUTE_PGM_RSRC2:USER_SGPR: 2
; COMPUTE_PGM_RSRC2:TRAP_HANDLER: 0
; COMPUTE_PGM_RSRC2:TGID_X_EN: 1
; COMPUTE_PGM_RSRC2:TGID_Y_EN: 0
; COMPUTE_PGM_RSRC2:TGID_Z_EN: 0
; COMPUTE_PGM_RSRC2:TIDIG_COMP_CNT: 0
; COMPUTE_PGM_RSRC3_GFX90A:ACCUM_OFFSET: 3
; COMPUTE_PGM_RSRC3_GFX90A:TG_SPLIT: 0
	.section	.text._Z6kernelI10flag_headsxLj256ELj4ELb0ELj100EEvPKT0_PS1_,"axG",@progbits,_Z6kernelI10flag_headsxLj256ELj4ELb0ELj100EEvPKT0_PS1_,comdat
	.protected	_Z6kernelI10flag_headsxLj256ELj4ELb0ELj100EEvPKT0_PS1_ ; -- Begin function _Z6kernelI10flag_headsxLj256ELj4ELb0ELj100EEvPKT0_PS1_
	.globl	_Z6kernelI10flag_headsxLj256ELj4ELb0ELj100EEvPKT0_PS1_
	.p2align	8
	.type	_Z6kernelI10flag_headsxLj256ELj4ELb0ELj100EEvPKT0_PS1_,@function
_Z6kernelI10flag_headsxLj256ELj4ELb0ELj100EEvPKT0_PS1_: ; @_Z6kernelI10flag_headsxLj256ELj4ELb0ELj100EEvPKT0_PS1_
; %bb.0:
	s_load_dwordx4 s[4:7], s[0:1], 0x0
	s_lshl_b32 s2, s2, 10
	s_mov_b32 s3, 0
	s_lshl_b64 s[8:9], s[2:3], 3
	v_mov_b32_e32 v9, 0
	s_waitcnt lgkmcnt(0)
	s_add_u32 s0, s4, s8
	s_addc_u32 s1, s5, s9
	v_lshlrev_b32_e32 v8, 3, v0
	v_lshl_add_u64 v[4:5], s[0:1], 0, v[8:9]
	v_add_co_u32_e32 v12, vcc, 0x1000, v4
	global_load_dwordx2 v[2:3], v8, s[0:1] offset:2048
	s_nop 0
	v_addc_co_u32_e32 v13, vcc, 0, v5, vcc
	global_load_dwordx2 v[4:5], v[12:13], off
	global_load_dwordx2 v[10:11], v8, s[0:1]
	global_load_dwordx2 v[6:7], v[12:13], off offset:2048
	v_cmp_ne_u32_e32 vcc, 0, v0
	v_add_u32_e32 v1, -8, v8
	s_movk_i32 s2, 0x64
	s_branch .LBB33_2
.LBB33_1:                               ;   in Loop: Header=BB33_2 Depth=1
	s_or_b64 exec, exec, s[4:5]
	v_cmp_eq_u64_e64 s[0:1], v[10:11], v[2:3]
	v_lshl_add_u64 v[10:11], v[12:13], 0, v[10:11]
	v_mov_b32_e32 v13, s3
	v_cndmask_b32_e64 v14, 0, 1, s[0:1]
	v_cmp_eq_u64_e64 s[0:1], v[2:3], v[4:5]
	v_mov_b32_e32 v15, s3
	s_add_i32 s2, s2, -1
	v_cndmask_b32_e64 v12, 0, 1, s[0:1]
	v_cmp_eq_u64_e64 s[0:1], v[4:5], v[6:7]
	v_lshl_add_u64 v[4:5], v[4:5], 0, v[12:13]
	v_lshl_add_u64 v[2:3], v[2:3], 0, v[14:15]
	v_cndmask_b32_e64 v12, 0, 1, s[0:1]
	v_lshl_add_u64 v[6:7], v[6:7], 0, v[12:13]
	s_cmp_lg_u32 s2, 0
	s_barrier
	s_cbranch_scc0 .LBB33_4
.LBB33_2:                               ; =>This Inner Loop Header: Depth=1
	v_mov_b64_e32 v[12:13], 1
	s_waitcnt vmcnt(0)
	ds_write_b64 v8, v[6:7]
	s_waitcnt lgkmcnt(0)
	s_barrier
	s_and_saveexec_b64 s[4:5], vcc
	s_cbranch_execz .LBB33_1
; %bb.3:                                ;   in Loop: Header=BB33_2 Depth=1
	ds_read_b64 v[12:13], v1
	s_waitcnt lgkmcnt(0)
	v_cmp_eq_u64_e64 s[0:1], v[12:13], v[10:11]
	s_nop 1
	v_cndmask_b32_e64 v12, 0, 1, s[0:1]
	v_mov_b32_e32 v13, s3
	s_branch .LBB33_1
.LBB33_4:
	s_add_u32 s0, s6, s8
	s_addc_u32 s1, s7, s9
	v_lshlrev_b32_e32 v0, 3, v0
	v_mov_b32_e32 v1, 0
	v_lshl_add_u64 v[8:9], s[0:1], 0, v[0:1]
	global_store_dwordx2 v0, v[10:11], s[0:1]
	global_store_dwordx2 v0, v[2:3], s[0:1] offset:2048
	v_add_co_u32_e32 v0, vcc, 0x1000, v8
	s_nop 1
	v_addc_co_u32_e32 v1, vcc, 0, v9, vcc
	global_store_dwordx2 v[0:1], v[4:5], off
	global_store_dwordx2 v[0:1], v[6:7], off offset:2048
	s_endpgm
	.section	.rodata,"a",@progbits
	.p2align	6, 0x0
	.amdhsa_kernel _Z6kernelI10flag_headsxLj256ELj4ELb0ELj100EEvPKT0_PS1_
		.amdhsa_group_segment_fixed_size 4096
		.amdhsa_private_segment_fixed_size 0
		.amdhsa_kernarg_size 16
		.amdhsa_user_sgpr_count 2
		.amdhsa_user_sgpr_dispatch_ptr 0
		.amdhsa_user_sgpr_queue_ptr 0
		.amdhsa_user_sgpr_kernarg_segment_ptr 1
		.amdhsa_user_sgpr_dispatch_id 0
		.amdhsa_user_sgpr_kernarg_preload_length 0
		.amdhsa_user_sgpr_kernarg_preload_offset 0
		.amdhsa_user_sgpr_private_segment_size 0
		.amdhsa_uses_dynamic_stack 0
		.amdhsa_enable_private_segment 0
		.amdhsa_system_sgpr_workgroup_id_x 1
		.amdhsa_system_sgpr_workgroup_id_y 0
		.amdhsa_system_sgpr_workgroup_id_z 0
		.amdhsa_system_sgpr_workgroup_info 0
		.amdhsa_system_vgpr_workitem_id 0
		.amdhsa_next_free_vgpr 16
		.amdhsa_next_free_sgpr 10
		.amdhsa_accum_offset 16
		.amdhsa_reserve_vcc 1
		.amdhsa_float_round_mode_32 0
		.amdhsa_float_round_mode_16_64 0
		.amdhsa_float_denorm_mode_32 3
		.amdhsa_float_denorm_mode_16_64 3
		.amdhsa_dx10_clamp 1
		.amdhsa_ieee_mode 1
		.amdhsa_fp16_overflow 0
		.amdhsa_tg_split 0
		.amdhsa_exception_fp_ieee_invalid_op 0
		.amdhsa_exception_fp_denorm_src 0
		.amdhsa_exception_fp_ieee_div_zero 0
		.amdhsa_exception_fp_ieee_overflow 0
		.amdhsa_exception_fp_ieee_underflow 0
		.amdhsa_exception_fp_ieee_inexact 0
		.amdhsa_exception_int_div_zero 0
	.end_amdhsa_kernel
	.section	.text._Z6kernelI10flag_headsxLj256ELj4ELb0ELj100EEvPKT0_PS1_,"axG",@progbits,_Z6kernelI10flag_headsxLj256ELj4ELb0ELj100EEvPKT0_PS1_,comdat
.Lfunc_end33:
	.size	_Z6kernelI10flag_headsxLj256ELj4ELb0ELj100EEvPKT0_PS1_, .Lfunc_end33-_Z6kernelI10flag_headsxLj256ELj4ELb0ELj100EEvPKT0_PS1_
                                        ; -- End function
	.section	.AMDGPU.csdata,"",@progbits
; Kernel info:
; codeLenInByte = 368
; NumSgprs: 16
; NumVgprs: 16
; NumAgprs: 0
; TotalNumVgprs: 16
; ScratchSize: 0
; MemoryBound: 0
; FloatMode: 240
; IeeeMode: 1
; LDSByteSize: 4096 bytes/workgroup (compile time only)
; SGPRBlocks: 1
; VGPRBlocks: 1
; NumSGPRsForWavesPerEU: 16
; NumVGPRsForWavesPerEU: 16
; AccumOffset: 16
; Occupancy: 8
; WaveLimiterHint : 1
; COMPUTE_PGM_RSRC2:SCRATCH_EN: 0
; COMPUTE_PGM_RSRC2:USER_SGPR: 2
; COMPUTE_PGM_RSRC2:TRAP_HANDLER: 0
; COMPUTE_PGM_RSRC2:TGID_X_EN: 1
; COMPUTE_PGM_RSRC2:TGID_Y_EN: 0
; COMPUTE_PGM_RSRC2:TGID_Z_EN: 0
; COMPUTE_PGM_RSRC2:TIDIG_COMP_CNT: 0
; COMPUTE_PGM_RSRC3_GFX90A:ACCUM_OFFSET: 3
; COMPUTE_PGM_RSRC3_GFX90A:TG_SPLIT: 0
	.section	.text._Z6kernelI10flag_headsxLj256ELj8ELb0ELj100EEvPKT0_PS1_,"axG",@progbits,_Z6kernelI10flag_headsxLj256ELj8ELb0ELj100EEvPKT0_PS1_,comdat
	.protected	_Z6kernelI10flag_headsxLj256ELj8ELb0ELj100EEvPKT0_PS1_ ; -- Begin function _Z6kernelI10flag_headsxLj256ELj8ELb0ELj100EEvPKT0_PS1_
	.globl	_Z6kernelI10flag_headsxLj256ELj8ELb0ELj100EEvPKT0_PS1_
	.p2align	8
	.type	_Z6kernelI10flag_headsxLj256ELj8ELb0ELj100EEvPKT0_PS1_,@function
_Z6kernelI10flag_headsxLj256ELj8ELb0ELj100EEvPKT0_PS1_: ; @_Z6kernelI10flag_headsxLj256ELj8ELb0ELj100EEvPKT0_PS1_
; %bb.0:
	s_load_dwordx4 s[4:7], s[0:1], 0x0
	s_lshl_b32 s0, s2, 11
	s_mov_b32 s1, 0
	s_lshl_b64 s[2:3], s[0:1], 3
	v_mov_b32_e32 v9, 0
	s_waitcnt lgkmcnt(0)
	s_add_u32 s0, s4, s2
	s_addc_u32 s1, s5, s3
	v_lshlrev_b32_e32 v14, 3, v0
	v_mov_b32_e32 v15, v9
	v_lshl_add_u64 v[6:7], s[0:1], 0, v[14:15]
	s_movk_i32 s4, 0x1000
	v_add_co_u32_e32 v22, vcc, s4, v6
	s_movk_i32 s4, 0x2000
	s_nop 0
	v_addc_co_u32_e32 v23, vcc, 0, v7, vcc
	v_add_co_u32_e32 v10, vcc, s4, v6
	s_movk_i32 s4, 0x3000
	s_nop 0
	v_addc_co_u32_e32 v11, vcc, 0, v7, vcc
	v_add_co_u32_e32 v24, vcc, s4, v6
	global_load_dwordx2 v[16:17], v14, s[0:1] offset:2048
	global_load_dwordx2 v[12:13], v[10:11], off offset:-4096
	global_load_dwordx2 v[4:5], v[10:11], off
	global_load_dwordx2 v[2:3], v[10:11], off offset:2048
	v_addc_co_u32_e32 v25, vcc, 0, v7, vcc
	global_load_dwordx2 v[18:19], v[22:23], off offset:2048
	global_load_dwordx2 v[6:7], v[24:25], off
	global_load_dwordx2 v[20:21], v14, s[0:1]
	global_load_dwordx2 v[10:11], v[24:25], off offset:2048
	v_cmp_ne_u32_e32 vcc, 0, v0
	v_add_u32_e32 v1, -8, v14
	s_movk_i32 s8, 0x64
	s_movk_i32 s9, 0xff
	v_mov_b32_e32 v15, 8
	s_branch .LBB34_2
.LBB34_1:                               ;   in Loop: Header=BB34_2 Depth=1
	s_or_b64 exec, exec, s[4:5]
	v_and_b32_e32 v8, 0xff, v23
	v_lshl_add_u64 v[20:21], v[20:21], 0, v[8:9]
	v_bfe_u32 v8, v23, 8, 8
	v_lshl_add_u64 v[16:17], v[16:17], 0, v[8:9]
	v_bfe_u32 v8, v23, 16, 8
	v_lshl_add_u64 v[12:13], v[12:13], 0, v[8:9]
	v_lshrrev_b32_e32 v8, 24, v23
	v_lshl_add_u64 v[18:19], v[18:19], 0, v[8:9]
	v_and_b32_e32 v8, 0xff, v22
	v_lshl_add_u64 v[4:5], v[4:5], 0, v[8:9]
	v_bfe_u32 v8, v22, 8, 8
	v_lshl_add_u64 v[2:3], v[2:3], 0, v[8:9]
	v_bfe_u32 v8, v22, 16, 8
	v_lshl_add_u64 v[6:7], v[6:7], 0, v[8:9]
	v_lshrrev_b32_e32 v8, 24, v22
	s_add_i32 s8, s8, -1
	v_lshl_add_u64 v[10:11], v[10:11], 0, v[8:9]
	s_cmp_lg_u32 s8, 0
	s_barrier
	s_cbranch_scc0 .LBB34_4
.LBB34_2:                               ; =>This Inner Loop Header: Depth=1
	s_waitcnt vmcnt(0)
	v_cmp_eq_u64_e64 s[0:1], v[6:7], v[10:11]
	ds_write_b64 v14, v[10:11]
	s_waitcnt lgkmcnt(0)
	v_cndmask_b32_e64 v8, 0, 1, s[0:1]
	v_cmp_eq_u64_e64 s[0:1], v[2:3], v[6:7]
	v_lshlrev_b16_e32 v8, 8, v8
	s_barrier
	v_cndmask_b32_e64 v22, 0, 1, s[0:1]
	v_cmp_eq_u64_e64 s[0:1], v[4:5], v[2:3]
	v_or_b32_sdwa v8, v22, v8 dst_sel:WORD_1 dst_unused:UNUSED_PAD src0_sel:DWORD src1_sel:DWORD
	s_nop 0
	v_cndmask_b32_e64 v24, 0, 1, s[0:1]
	v_cmp_eq_u64_e64 s[0:1], v[18:19], v[4:5]
	v_lshlrev_b16_e32 v24, 8, v24
	s_nop 0
	v_cndmask_b32_e64 v25, 0, 1, s[0:1]
	v_cmp_eq_u64_e64 s[0:1], v[12:13], v[18:19]
	v_or_b32_e32 v24, v25, v24
	v_or_b32_sdwa v22, v24, v8 dst_sel:DWORD dst_unused:UNUSED_PAD src0_sel:WORD_0 src1_sel:DWORD
	v_cndmask_b32_e64 v23, 0, 1, s[0:1]
	v_cmp_eq_u64_e64 s[0:1], v[16:17], v[12:13]
	v_lshlrev_b16_e32 v23, 8, v23
	s_nop 0
	v_cndmask_b32_e64 v26, 0, 1, s[0:1]
	v_cmp_eq_u64_e64 s[0:1], v[20:21], v[16:17]
	v_or_b32_sdwa v23, v26, v23 dst_sel:WORD_1 dst_unused:UNUSED_PAD src0_sel:DWORD src1_sel:DWORD
	s_nop 0
	v_cndmask_b32_e64 v27, 0, 1, s[0:1]
	v_lshlrev_b16_e32 v26, 8, v27
	v_or_b32_e32 v26, 1, v26
	v_or_b32_sdwa v23, v26, v23 dst_sel:DWORD dst_unused:UNUSED_PAD src0_sel:WORD_0 src1_sel:DWORD
	s_and_saveexec_b64 s[4:5], vcc
	s_cbranch_execz .LBB34_1
; %bb.3:                                ;   in Loop: Header=BB34_2 Depth=1
	ds_read_b64 v[24:25], v1
	v_lshrrev_b32_e32 v26, 24, v23
	v_lshrrev_b32_sdwa v8, v15, v23 dst_sel:BYTE_1 dst_unused:UNUSED_PAD src0_sel:DWORD src1_sel:DWORD
	v_lshlrev_b16_e32 v26, 8, v26
	v_and_b32_sdwa v23, v23, s9 dst_sel:DWORD dst_unused:UNUSED_PAD src0_sel:WORD_1 src1_sel:DWORD
	s_waitcnt lgkmcnt(0)
	v_cmp_eq_u64_e64 s[0:1], v[24:25], v[20:21]
	v_or_b32_sdwa v23, v23, v26 dst_sel:WORD_1 dst_unused:UNUSED_PAD src0_sel:DWORD src1_sel:DWORD
	s_nop 0
	v_cndmask_b32_e64 v24, 0, 1, s[0:1]
	v_or_b32_e32 v8, v24, v8
	v_or_b32_sdwa v23, v8, v23 dst_sel:DWORD dst_unused:UNUSED_PAD src0_sel:WORD_0 src1_sel:DWORD
	s_branch .LBB34_1
.LBB34_4:
	s_add_u32 s0, s6, s2
	s_addc_u32 s1, s7, s3
	v_lshlrev_b32_e32 v0, 3, v0
	v_mov_b32_e32 v1, 0
	v_lshl_add_u64 v[8:9], s[0:1], 0, v[0:1]
	global_store_dwordx2 v0, v[20:21], s[0:1]
	global_store_dwordx2 v0, v[16:17], s[0:1] offset:2048
	v_add_co_u32_e32 v0, vcc, 0x1000, v8
	s_nop 1
	v_addc_co_u32_e32 v1, vcc, 0, v9, vcc
	global_store_dwordx2 v[0:1], v[12:13], off
	global_store_dwordx2 v[0:1], v[18:19], off offset:2048
	v_add_co_u32_e32 v0, vcc, 0x2000, v8
	s_nop 1
	v_addc_co_u32_e32 v1, vcc, 0, v9, vcc
	global_store_dwordx2 v[0:1], v[4:5], off
	global_store_dwordx2 v[0:1], v[2:3], off offset:2048
	v_add_co_u32_e32 v0, vcc, 0x3000, v8
	s_nop 1
	v_addc_co_u32_e32 v1, vcc, 0, v9, vcc
	global_store_dwordx2 v[0:1], v[6:7], off
	global_store_dwordx2 v[0:1], v[10:11], off offset:2048
	s_endpgm
	.section	.rodata,"a",@progbits
	.p2align	6, 0x0
	.amdhsa_kernel _Z6kernelI10flag_headsxLj256ELj8ELb0ELj100EEvPKT0_PS1_
		.amdhsa_group_segment_fixed_size 4096
		.amdhsa_private_segment_fixed_size 0
		.amdhsa_kernarg_size 16
		.amdhsa_user_sgpr_count 2
		.amdhsa_user_sgpr_dispatch_ptr 0
		.amdhsa_user_sgpr_queue_ptr 0
		.amdhsa_user_sgpr_kernarg_segment_ptr 1
		.amdhsa_user_sgpr_dispatch_id 0
		.amdhsa_user_sgpr_kernarg_preload_length 0
		.amdhsa_user_sgpr_kernarg_preload_offset 0
		.amdhsa_user_sgpr_private_segment_size 0
		.amdhsa_uses_dynamic_stack 0
		.amdhsa_enable_private_segment 0
		.amdhsa_system_sgpr_workgroup_id_x 1
		.amdhsa_system_sgpr_workgroup_id_y 0
		.amdhsa_system_sgpr_workgroup_id_z 0
		.amdhsa_system_sgpr_workgroup_info 0
		.amdhsa_system_vgpr_workitem_id 0
		.amdhsa_next_free_vgpr 28
		.amdhsa_next_free_sgpr 10
		.amdhsa_accum_offset 28
		.amdhsa_reserve_vcc 1
		.amdhsa_float_round_mode_32 0
		.amdhsa_float_round_mode_16_64 0
		.amdhsa_float_denorm_mode_32 3
		.amdhsa_float_denorm_mode_16_64 3
		.amdhsa_dx10_clamp 1
		.amdhsa_ieee_mode 1
		.amdhsa_fp16_overflow 0
		.amdhsa_tg_split 0
		.amdhsa_exception_fp_ieee_invalid_op 0
		.amdhsa_exception_fp_denorm_src 0
		.amdhsa_exception_fp_ieee_div_zero 0
		.amdhsa_exception_fp_ieee_overflow 0
		.amdhsa_exception_fp_ieee_underflow 0
		.amdhsa_exception_fp_ieee_inexact 0
		.amdhsa_exception_int_div_zero 0
	.end_amdhsa_kernel
	.section	.text._Z6kernelI10flag_headsxLj256ELj8ELb0ELj100EEvPKT0_PS1_,"axG",@progbits,_Z6kernelI10flag_headsxLj256ELj8ELb0ELj100EEvPKT0_PS1_,comdat
.Lfunc_end34:
	.size	_Z6kernelI10flag_headsxLj256ELj8ELb0ELj100EEvPKT0_PS1_, .Lfunc_end34-_Z6kernelI10flag_headsxLj256ELj8ELb0ELj100EEvPKT0_PS1_
                                        ; -- End function
	.section	.AMDGPU.csdata,"",@progbits
; Kernel info:
; codeLenInByte = 756
; NumSgprs: 16
; NumVgprs: 28
; NumAgprs: 0
; TotalNumVgprs: 28
; ScratchSize: 0
; MemoryBound: 0
; FloatMode: 240
; IeeeMode: 1
; LDSByteSize: 4096 bytes/workgroup (compile time only)
; SGPRBlocks: 1
; VGPRBlocks: 3
; NumSGPRsForWavesPerEU: 16
; NumVGPRsForWavesPerEU: 28
; AccumOffset: 28
; Occupancy: 8
; WaveLimiterHint : 1
; COMPUTE_PGM_RSRC2:SCRATCH_EN: 0
; COMPUTE_PGM_RSRC2:USER_SGPR: 2
; COMPUTE_PGM_RSRC2:TRAP_HANDLER: 0
; COMPUTE_PGM_RSRC2:TGID_X_EN: 1
; COMPUTE_PGM_RSRC2:TGID_Y_EN: 0
; COMPUTE_PGM_RSRC2:TGID_Z_EN: 0
; COMPUTE_PGM_RSRC2:TIDIG_COMP_CNT: 0
; COMPUTE_PGM_RSRC3_GFX90A:ACCUM_OFFSET: 6
; COMPUTE_PGM_RSRC3_GFX90A:TG_SPLIT: 0
	.section	.text._Z6kernelI10flag_headsxLj256ELj1ELb1ELj100EEvPKT0_PS1_,"axG",@progbits,_Z6kernelI10flag_headsxLj256ELj1ELb1ELj100EEvPKT0_PS1_,comdat
	.protected	_Z6kernelI10flag_headsxLj256ELj1ELb1ELj100EEvPKT0_PS1_ ; -- Begin function _Z6kernelI10flag_headsxLj256ELj1ELb1ELj100EEvPKT0_PS1_
	.globl	_Z6kernelI10flag_headsxLj256ELj1ELb1ELj100EEvPKT0_PS1_
	.p2align	8
	.type	_Z6kernelI10flag_headsxLj256ELj1ELb1ELj100EEvPKT0_PS1_,@function
_Z6kernelI10flag_headsxLj256ELj1ELb1ELj100EEvPKT0_PS1_: ; @_Z6kernelI10flag_headsxLj256ELj1ELb1ELj100EEvPKT0_PS1_
; %bb.0:
	s_load_dwordx4 s[4:7], s[0:1], 0x0
	s_lshl_b32 s2, s2, 8
	s_mov_b32 s3, 0
	s_lshl_b64 s[8:9], s[2:3], 3
	v_lshlrev_b32_e32 v1, 3, v0
	s_waitcnt lgkmcnt(0)
	s_add_u32 s0, s4, s8
	s_addc_u32 s1, s5, s9
	global_load_dwordx2 v[2:3], v1, s[0:1]
	v_cmp_ne_u32_e32 vcc, 0, v0
	v_add_u32_e32 v6, -8, v1
	s_movk_i32 s2, 0x64
	s_branch .LBB35_2
.LBB35_1:                               ;   in Loop: Header=BB35_2 Depth=1
	s_or_b64 exec, exec, s[0:1]
	s_waitcnt lgkmcnt(0)
	v_cmp_eq_u64_e64 s[0:1], v[4:5], v[2:3]
	v_mov_b32_e32 v5, s3
	s_add_i32 s2, s2, -1
	v_cndmask_b32_e64 v4, 0, 1, s[0:1]
	v_lshl_add_u64 v[2:3], v[2:3], 0, v[4:5]
	s_cmp_lg_u32 s2, 0
	s_barrier
	s_cbranch_scc0 .LBB35_4
.LBB35_2:                               ; =>This Inner Loop Header: Depth=1
	v_mov_b64_e32 v[4:5], 0x7b
	s_waitcnt vmcnt(0)
	ds_write_b64 v1, v[2:3]
	s_waitcnt lgkmcnt(0)
	s_barrier
	s_and_saveexec_b64 s[0:1], vcc
	s_cbranch_execz .LBB35_1
; %bb.3:                                ;   in Loop: Header=BB35_2 Depth=1
	ds_read_b64 v[4:5], v6
	s_branch .LBB35_1
.LBB35_4:
	s_add_u32 s0, s6, s8
	s_addc_u32 s1, s7, s9
	v_lshlrev_b32_e32 v0, 3, v0
	global_store_dwordx2 v0, v[2:3], s[0:1]
	s_endpgm
	.section	.rodata,"a",@progbits
	.p2align	6, 0x0
	.amdhsa_kernel _Z6kernelI10flag_headsxLj256ELj1ELb1ELj100EEvPKT0_PS1_
		.amdhsa_group_segment_fixed_size 4096
		.amdhsa_private_segment_fixed_size 0
		.amdhsa_kernarg_size 16
		.amdhsa_user_sgpr_count 2
		.amdhsa_user_sgpr_dispatch_ptr 0
		.amdhsa_user_sgpr_queue_ptr 0
		.amdhsa_user_sgpr_kernarg_segment_ptr 1
		.amdhsa_user_sgpr_dispatch_id 0
		.amdhsa_user_sgpr_kernarg_preload_length 0
		.amdhsa_user_sgpr_kernarg_preload_offset 0
		.amdhsa_user_sgpr_private_segment_size 0
		.amdhsa_uses_dynamic_stack 0
		.amdhsa_enable_private_segment 0
		.amdhsa_system_sgpr_workgroup_id_x 1
		.amdhsa_system_sgpr_workgroup_id_y 0
		.amdhsa_system_sgpr_workgroup_id_z 0
		.amdhsa_system_sgpr_workgroup_info 0
		.amdhsa_system_vgpr_workitem_id 0
		.amdhsa_next_free_vgpr 7
		.amdhsa_next_free_sgpr 10
		.amdhsa_accum_offset 8
		.amdhsa_reserve_vcc 1
		.amdhsa_float_round_mode_32 0
		.amdhsa_float_round_mode_16_64 0
		.amdhsa_float_denorm_mode_32 3
		.amdhsa_float_denorm_mode_16_64 3
		.amdhsa_dx10_clamp 1
		.amdhsa_ieee_mode 1
		.amdhsa_fp16_overflow 0
		.amdhsa_tg_split 0
		.amdhsa_exception_fp_ieee_invalid_op 0
		.amdhsa_exception_fp_denorm_src 0
		.amdhsa_exception_fp_ieee_div_zero 0
		.amdhsa_exception_fp_ieee_overflow 0
		.amdhsa_exception_fp_ieee_underflow 0
		.amdhsa_exception_fp_ieee_inexact 0
		.amdhsa_exception_int_div_zero 0
	.end_amdhsa_kernel
	.section	.text._Z6kernelI10flag_headsxLj256ELj1ELb1ELj100EEvPKT0_PS1_,"axG",@progbits,_Z6kernelI10flag_headsxLj256ELj1ELb1ELj100EEvPKT0_PS1_,comdat
.Lfunc_end35:
	.size	_Z6kernelI10flag_headsxLj256ELj1ELb1ELj100EEvPKT0_PS1_, .Lfunc_end35-_Z6kernelI10flag_headsxLj256ELj1ELb1ELj100EEvPKT0_PS1_
                                        ; -- End function
	.section	.AMDGPU.csdata,"",@progbits
; Kernel info:
; codeLenInByte = 184
; NumSgprs: 16
; NumVgprs: 7
; NumAgprs: 0
; TotalNumVgprs: 7
; ScratchSize: 0
; MemoryBound: 0
; FloatMode: 240
; IeeeMode: 1
; LDSByteSize: 4096 bytes/workgroup (compile time only)
; SGPRBlocks: 1
; VGPRBlocks: 0
; NumSGPRsForWavesPerEU: 16
; NumVGPRsForWavesPerEU: 7
; AccumOffset: 8
; Occupancy: 8
; WaveLimiterHint : 0
; COMPUTE_PGM_RSRC2:SCRATCH_EN: 0
; COMPUTE_PGM_RSRC2:USER_SGPR: 2
; COMPUTE_PGM_RSRC2:TRAP_HANDLER: 0
; COMPUTE_PGM_RSRC2:TGID_X_EN: 1
; COMPUTE_PGM_RSRC2:TGID_Y_EN: 0
; COMPUTE_PGM_RSRC2:TGID_Z_EN: 0
; COMPUTE_PGM_RSRC2:TIDIG_COMP_CNT: 0
; COMPUTE_PGM_RSRC3_GFX90A:ACCUM_OFFSET: 1
; COMPUTE_PGM_RSRC3_GFX90A:TG_SPLIT: 0
	.section	.text._Z6kernelI10flag_headsxLj256ELj2ELb1ELj100EEvPKT0_PS1_,"axG",@progbits,_Z6kernelI10flag_headsxLj256ELj2ELb1ELj100EEvPKT0_PS1_,comdat
	.protected	_Z6kernelI10flag_headsxLj256ELj2ELb1ELj100EEvPKT0_PS1_ ; -- Begin function _Z6kernelI10flag_headsxLj256ELj2ELb1ELj100EEvPKT0_PS1_
	.globl	_Z6kernelI10flag_headsxLj256ELj2ELb1ELj100EEvPKT0_PS1_
	.p2align	8
	.type	_Z6kernelI10flag_headsxLj256ELj2ELb1ELj100EEvPKT0_PS1_,@function
_Z6kernelI10flag_headsxLj256ELj2ELb1ELj100EEvPKT0_PS1_: ; @_Z6kernelI10flag_headsxLj256ELj2ELb1ELj100EEvPKT0_PS1_
; %bb.0:
	s_load_dwordx4 s[4:7], s[0:1], 0x0
	s_lshl_b32 s2, s2, 9
	s_mov_b32 s3, 0
	s_lshl_b64 s[8:9], s[2:3], 3
	v_lshlrev_b32_e32 v1, 3, v0
	s_waitcnt lgkmcnt(0)
	s_add_u32 s0, s4, s8
	s_addc_u32 s1, s5, s9
	global_load_dwordx2 v[2:3], v1, s[0:1]
	global_load_dwordx2 v[4:5], v1, s[0:1] offset:2048
	v_cmp_ne_u32_e32 vcc, 0, v0
	v_add_u32_e32 v8, -8, v1
	s_movk_i32 s2, 0x64
	s_branch .LBB36_2
.LBB36_1:                               ;   in Loop: Header=BB36_2 Depth=1
	s_or_b64 exec, exec, s[0:1]
	s_waitcnt lgkmcnt(0)
	v_cmp_eq_u64_e64 s[0:1], v[6:7], v[2:3]
	v_mov_b32_e32 v7, s3
	s_add_i32 s2, s2, -1
	v_cndmask_b32_e64 v6, 0, 1, s[0:1]
	v_cmp_eq_u64_e64 s[0:1], v[2:3], v[4:5]
	v_lshl_add_u64 v[2:3], v[2:3], 0, v[6:7]
	s_cmp_lg_u32 s2, 0
	v_cndmask_b32_e64 v6, 0, 1, s[0:1]
	v_lshl_add_u64 v[4:5], v[4:5], 0, v[6:7]
	s_barrier
	s_cbranch_scc0 .LBB36_4
.LBB36_2:                               ; =>This Inner Loop Header: Depth=1
	v_mov_b64_e32 v[6:7], 0x7b
	s_waitcnt vmcnt(0)
	ds_write_b64 v1, v[4:5]
	s_waitcnt lgkmcnt(0)
	s_barrier
	s_and_saveexec_b64 s[0:1], vcc
	s_cbranch_execz .LBB36_1
; %bb.3:                                ;   in Loop: Header=BB36_2 Depth=1
	ds_read_b64 v[6:7], v8
	s_branch .LBB36_1
.LBB36_4:
	s_add_u32 s0, s6, s8
	s_addc_u32 s1, s7, s9
	v_lshlrev_b32_e32 v0, 3, v0
	global_store_dwordx2 v0, v[2:3], s[0:1]
	global_store_dwordx2 v0, v[4:5], s[0:1] offset:2048
	s_endpgm
	.section	.rodata,"a",@progbits
	.p2align	6, 0x0
	.amdhsa_kernel _Z6kernelI10flag_headsxLj256ELj2ELb1ELj100EEvPKT0_PS1_
		.amdhsa_group_segment_fixed_size 4096
		.amdhsa_private_segment_fixed_size 0
		.amdhsa_kernarg_size 16
		.amdhsa_user_sgpr_count 2
		.amdhsa_user_sgpr_dispatch_ptr 0
		.amdhsa_user_sgpr_queue_ptr 0
		.amdhsa_user_sgpr_kernarg_segment_ptr 1
		.amdhsa_user_sgpr_dispatch_id 0
		.amdhsa_user_sgpr_kernarg_preload_length 0
		.amdhsa_user_sgpr_kernarg_preload_offset 0
		.amdhsa_user_sgpr_private_segment_size 0
		.amdhsa_uses_dynamic_stack 0
		.amdhsa_enable_private_segment 0
		.amdhsa_system_sgpr_workgroup_id_x 1
		.amdhsa_system_sgpr_workgroup_id_y 0
		.amdhsa_system_sgpr_workgroup_id_z 0
		.amdhsa_system_sgpr_workgroup_info 0
		.amdhsa_system_vgpr_workitem_id 0
		.amdhsa_next_free_vgpr 9
		.amdhsa_next_free_sgpr 10
		.amdhsa_accum_offset 12
		.amdhsa_reserve_vcc 1
		.amdhsa_float_round_mode_32 0
		.amdhsa_float_round_mode_16_64 0
		.amdhsa_float_denorm_mode_32 3
		.amdhsa_float_denorm_mode_16_64 3
		.amdhsa_dx10_clamp 1
		.amdhsa_ieee_mode 1
		.amdhsa_fp16_overflow 0
		.amdhsa_tg_split 0
		.amdhsa_exception_fp_ieee_invalid_op 0
		.amdhsa_exception_fp_denorm_src 0
		.amdhsa_exception_fp_ieee_div_zero 0
		.amdhsa_exception_fp_ieee_overflow 0
		.amdhsa_exception_fp_ieee_underflow 0
		.amdhsa_exception_fp_ieee_inexact 0
		.amdhsa_exception_int_div_zero 0
	.end_amdhsa_kernel
	.section	.text._Z6kernelI10flag_headsxLj256ELj2ELb1ELj100EEvPKT0_PS1_,"axG",@progbits,_Z6kernelI10flag_headsxLj256ELj2ELb1ELj100EEvPKT0_PS1_,comdat
.Lfunc_end36:
	.size	_Z6kernelI10flag_headsxLj256ELj2ELb1ELj100EEvPKT0_PS1_, .Lfunc_end36-_Z6kernelI10flag_headsxLj256ELj2ELb1ELj100EEvPKT0_PS1_
                                        ; -- End function
	.section	.AMDGPU.csdata,"",@progbits
; Kernel info:
; codeLenInByte = 224
; NumSgprs: 16
; NumVgprs: 9
; NumAgprs: 0
; TotalNumVgprs: 9
; ScratchSize: 0
; MemoryBound: 0
; FloatMode: 240
; IeeeMode: 1
; LDSByteSize: 4096 bytes/workgroup (compile time only)
; SGPRBlocks: 1
; VGPRBlocks: 1
; NumSGPRsForWavesPerEU: 16
; NumVGPRsForWavesPerEU: 9
; AccumOffset: 12
; Occupancy: 8
; WaveLimiterHint : 1
; COMPUTE_PGM_RSRC2:SCRATCH_EN: 0
; COMPUTE_PGM_RSRC2:USER_SGPR: 2
; COMPUTE_PGM_RSRC2:TRAP_HANDLER: 0
; COMPUTE_PGM_RSRC2:TGID_X_EN: 1
; COMPUTE_PGM_RSRC2:TGID_Y_EN: 0
; COMPUTE_PGM_RSRC2:TGID_Z_EN: 0
; COMPUTE_PGM_RSRC2:TIDIG_COMP_CNT: 0
; COMPUTE_PGM_RSRC3_GFX90A:ACCUM_OFFSET: 2
; COMPUTE_PGM_RSRC3_GFX90A:TG_SPLIT: 0
	.section	.text._Z6kernelI10flag_headsxLj256ELj3ELb1ELj100EEvPKT0_PS1_,"axG",@progbits,_Z6kernelI10flag_headsxLj256ELj3ELb1ELj100EEvPKT0_PS1_,comdat
	.protected	_Z6kernelI10flag_headsxLj256ELj3ELb1ELj100EEvPKT0_PS1_ ; -- Begin function _Z6kernelI10flag_headsxLj256ELj3ELb1ELj100EEvPKT0_PS1_
	.globl	_Z6kernelI10flag_headsxLj256ELj3ELb1ELj100EEvPKT0_PS1_
	.p2align	8
	.type	_Z6kernelI10flag_headsxLj256ELj3ELb1ELj100EEvPKT0_PS1_,@function
_Z6kernelI10flag_headsxLj256ELj3ELb1ELj100EEvPKT0_PS1_: ; @_Z6kernelI10flag_headsxLj256ELj3ELb1ELj100EEvPKT0_PS1_
; %bb.0:
	s_load_dwordx4 s[4:7], s[0:1], 0x0
	s_mulk_i32 s2, 0x300
	s_mov_b32 s3, 0
	s_lshl_b64 s[8:9], s[2:3], 3
	v_mov_b32_e32 v7, 0
	s_waitcnt lgkmcnt(0)
	s_add_u32 s0, s4, s8
	s_addc_u32 s1, s5, s9
	v_lshlrev_b32_e32 v6, 3, v0
	v_lshl_add_u64 v[4:5], s[0:1], 0, v[6:7]
	v_add_co_u32_e32 v10, vcc, 0x1000, v4
	global_load_dwordx2 v[2:3], v6, s[0:1] offset:2048
	s_nop 0
	v_addc_co_u32_e32 v11, vcc, 0, v5, vcc
	global_load_dwordx2 v[8:9], v6, s[0:1]
	global_load_dwordx2 v[4:5], v[10:11], off
	v_cmp_ne_u32_e32 vcc, 0, v0
	v_add_u32_e32 v1, -8, v6
	s_movk_i32 s2, 0x64
	s_branch .LBB37_2
.LBB37_1:                               ;   in Loop: Header=BB37_2 Depth=1
	s_or_b64 exec, exec, s[0:1]
	s_waitcnt lgkmcnt(0)
	v_cmp_eq_u64_e64 s[0:1], v[10:11], v[8:9]
	v_mov_b32_e32 v11, s3
	s_add_i32 s2, s2, -1
	v_cndmask_b32_e64 v10, 0, 1, s[0:1]
	v_cmp_eq_u64_e64 s[0:1], v[8:9], v[2:3]
	v_lshl_add_u64 v[8:9], v[8:9], 0, v[10:11]
	s_cmp_lg_u32 s2, 0
	v_cndmask_b32_e64 v10, 0, 1, s[0:1]
	v_cmp_eq_u64_e64 s[0:1], v[2:3], v[4:5]
	v_lshl_add_u64 v[2:3], v[2:3], 0, v[10:11]
	s_nop 0
	v_cndmask_b32_e64 v10, 0, 1, s[0:1]
	v_lshl_add_u64 v[4:5], v[4:5], 0, v[10:11]
	s_barrier
	s_cbranch_scc0 .LBB37_4
.LBB37_2:                               ; =>This Inner Loop Header: Depth=1
	v_mov_b64_e32 v[10:11], 0x7b
	s_waitcnt vmcnt(0)
	ds_write_b64 v6, v[4:5]
	s_waitcnt lgkmcnt(0)
	s_barrier
	s_and_saveexec_b64 s[0:1], vcc
	s_cbranch_execz .LBB37_1
; %bb.3:                                ;   in Loop: Header=BB37_2 Depth=1
	ds_read_b64 v[10:11], v1
	s_branch .LBB37_1
.LBB37_4:
	s_add_u32 s0, s6, s8
	s_addc_u32 s1, s7, s9
	v_lshlrev_b32_e32 v0, 3, v0
	v_mov_b32_e32 v1, 0
	v_lshl_add_u64 v[6:7], s[0:1], 0, v[0:1]
	global_store_dwordx2 v0, v[8:9], s[0:1]
	global_store_dwordx2 v0, v[2:3], s[0:1] offset:2048
	v_add_co_u32_e32 v0, vcc, 0x1000, v6
	s_nop 1
	v_addc_co_u32_e32 v1, vcc, 0, v7, vcc
	global_store_dwordx2 v[0:1], v[4:5], off
	s_endpgm
	.section	.rodata,"a",@progbits
	.p2align	6, 0x0
	.amdhsa_kernel _Z6kernelI10flag_headsxLj256ELj3ELb1ELj100EEvPKT0_PS1_
		.amdhsa_group_segment_fixed_size 4096
		.amdhsa_private_segment_fixed_size 0
		.amdhsa_kernarg_size 16
		.amdhsa_user_sgpr_count 2
		.amdhsa_user_sgpr_dispatch_ptr 0
		.amdhsa_user_sgpr_queue_ptr 0
		.amdhsa_user_sgpr_kernarg_segment_ptr 1
		.amdhsa_user_sgpr_dispatch_id 0
		.amdhsa_user_sgpr_kernarg_preload_length 0
		.amdhsa_user_sgpr_kernarg_preload_offset 0
		.amdhsa_user_sgpr_private_segment_size 0
		.amdhsa_uses_dynamic_stack 0
		.amdhsa_enable_private_segment 0
		.amdhsa_system_sgpr_workgroup_id_x 1
		.amdhsa_system_sgpr_workgroup_id_y 0
		.amdhsa_system_sgpr_workgroup_id_z 0
		.amdhsa_system_sgpr_workgroup_info 0
		.amdhsa_system_vgpr_workitem_id 0
		.amdhsa_next_free_vgpr 12
		.amdhsa_next_free_sgpr 10
		.amdhsa_accum_offset 12
		.amdhsa_reserve_vcc 1
		.amdhsa_float_round_mode_32 0
		.amdhsa_float_round_mode_16_64 0
		.amdhsa_float_denorm_mode_32 3
		.amdhsa_float_denorm_mode_16_64 3
		.amdhsa_dx10_clamp 1
		.amdhsa_ieee_mode 1
		.amdhsa_fp16_overflow 0
		.amdhsa_tg_split 0
		.amdhsa_exception_fp_ieee_invalid_op 0
		.amdhsa_exception_fp_denorm_src 0
		.amdhsa_exception_fp_ieee_div_zero 0
		.amdhsa_exception_fp_ieee_overflow 0
		.amdhsa_exception_fp_ieee_underflow 0
		.amdhsa_exception_fp_ieee_inexact 0
		.amdhsa_exception_int_div_zero 0
	.end_amdhsa_kernel
	.section	.text._Z6kernelI10flag_headsxLj256ELj3ELb1ELj100EEvPKT0_PS1_,"axG",@progbits,_Z6kernelI10flag_headsxLj256ELj3ELb1ELj100EEvPKT0_PS1_,comdat
.Lfunc_end37:
	.size	_Z6kernelI10flag_headsxLj256ELj3ELb1ELj100EEvPKT0_PS1_, .Lfunc_end37-_Z6kernelI10flag_headsxLj256ELj3ELb1ELj100EEvPKT0_PS1_
                                        ; -- End function
	.section	.AMDGPU.csdata,"",@progbits
; Kernel info:
; codeLenInByte = 324
; NumSgprs: 16
; NumVgprs: 12
; NumAgprs: 0
; TotalNumVgprs: 12
; ScratchSize: 0
; MemoryBound: 0
; FloatMode: 240
; IeeeMode: 1
; LDSByteSize: 4096 bytes/workgroup (compile time only)
; SGPRBlocks: 1
; VGPRBlocks: 1
; NumSGPRsForWavesPerEU: 16
; NumVGPRsForWavesPerEU: 12
; AccumOffset: 12
; Occupancy: 8
; WaveLimiterHint : 1
; COMPUTE_PGM_RSRC2:SCRATCH_EN: 0
; COMPUTE_PGM_RSRC2:USER_SGPR: 2
; COMPUTE_PGM_RSRC2:TRAP_HANDLER: 0
; COMPUTE_PGM_RSRC2:TGID_X_EN: 1
; COMPUTE_PGM_RSRC2:TGID_Y_EN: 0
; COMPUTE_PGM_RSRC2:TGID_Z_EN: 0
; COMPUTE_PGM_RSRC2:TIDIG_COMP_CNT: 0
; COMPUTE_PGM_RSRC3_GFX90A:ACCUM_OFFSET: 2
; COMPUTE_PGM_RSRC3_GFX90A:TG_SPLIT: 0
	.section	.text._Z6kernelI10flag_headsxLj256ELj4ELb1ELj100EEvPKT0_PS1_,"axG",@progbits,_Z6kernelI10flag_headsxLj256ELj4ELb1ELj100EEvPKT0_PS1_,comdat
	.protected	_Z6kernelI10flag_headsxLj256ELj4ELb1ELj100EEvPKT0_PS1_ ; -- Begin function _Z6kernelI10flag_headsxLj256ELj4ELb1ELj100EEvPKT0_PS1_
	.globl	_Z6kernelI10flag_headsxLj256ELj4ELb1ELj100EEvPKT0_PS1_
	.p2align	8
	.type	_Z6kernelI10flag_headsxLj256ELj4ELb1ELj100EEvPKT0_PS1_,@function
_Z6kernelI10flag_headsxLj256ELj4ELb1ELj100EEvPKT0_PS1_: ; @_Z6kernelI10flag_headsxLj256ELj4ELb1ELj100EEvPKT0_PS1_
; %bb.0:
	s_load_dwordx4 s[4:7], s[0:1], 0x0
	s_lshl_b32 s2, s2, 10
	s_mov_b32 s3, 0
	s_lshl_b64 s[8:9], s[2:3], 3
	v_mov_b32_e32 v9, 0
	s_waitcnt lgkmcnt(0)
	s_add_u32 s0, s4, s8
	s_addc_u32 s1, s5, s9
	v_lshlrev_b32_e32 v8, 3, v0
	v_lshl_add_u64 v[4:5], s[0:1], 0, v[8:9]
	v_add_co_u32_e32 v12, vcc, 0x1000, v4
	global_load_dwordx2 v[2:3], v8, s[0:1] offset:2048
	s_nop 0
	v_addc_co_u32_e32 v13, vcc, 0, v5, vcc
	global_load_dwordx2 v[4:5], v[12:13], off
	global_load_dwordx2 v[10:11], v8, s[0:1]
	global_load_dwordx2 v[6:7], v[12:13], off offset:2048
	v_cmp_ne_u32_e32 vcc, 0, v0
	v_add_u32_e32 v1, -8, v8
	s_movk_i32 s2, 0x64
	s_branch .LBB38_2
.LBB38_1:                               ;   in Loop: Header=BB38_2 Depth=1
	s_or_b64 exec, exec, s[0:1]
	s_waitcnt lgkmcnt(0)
	v_cmp_eq_u64_e64 s[0:1], v[12:13], v[10:11]
	v_mov_b32_e32 v13, s3
	s_add_i32 s2, s2, -1
	v_cndmask_b32_e64 v12, 0, 1, s[0:1]
	v_cmp_eq_u64_e64 s[0:1], v[10:11], v[2:3]
	v_lshl_add_u64 v[10:11], v[10:11], 0, v[12:13]
	s_cmp_lg_u32 s2, 0
	v_cndmask_b32_e64 v12, 0, 1, s[0:1]
	v_cmp_eq_u64_e64 s[0:1], v[2:3], v[4:5]
	v_lshl_add_u64 v[2:3], v[2:3], 0, v[12:13]
	s_nop 0
	v_cndmask_b32_e64 v12, 0, 1, s[0:1]
	v_cmp_eq_u64_e64 s[0:1], v[4:5], v[6:7]
	v_lshl_add_u64 v[4:5], v[4:5], 0, v[12:13]
	s_barrier
	v_cndmask_b32_e64 v12, 0, 1, s[0:1]
	v_lshl_add_u64 v[6:7], v[6:7], 0, v[12:13]
	s_cbranch_scc0 .LBB38_4
.LBB38_2:                               ; =>This Inner Loop Header: Depth=1
	v_mov_b64_e32 v[12:13], 0x7b
	s_waitcnt vmcnt(0)
	ds_write_b64 v8, v[6:7]
	s_waitcnt lgkmcnt(0)
	s_barrier
	s_and_saveexec_b64 s[0:1], vcc
	s_cbranch_execz .LBB38_1
; %bb.3:                                ;   in Loop: Header=BB38_2 Depth=1
	ds_read_b64 v[12:13], v1
	s_branch .LBB38_1
.LBB38_4:
	s_add_u32 s0, s6, s8
	s_addc_u32 s1, s7, s9
	v_lshlrev_b32_e32 v0, 3, v0
	v_mov_b32_e32 v1, 0
	v_lshl_add_u64 v[8:9], s[0:1], 0, v[0:1]
	global_store_dwordx2 v0, v[10:11], s[0:1]
	global_store_dwordx2 v0, v[2:3], s[0:1] offset:2048
	v_add_co_u32_e32 v0, vcc, 0x1000, v8
	s_nop 1
	v_addc_co_u32_e32 v1, vcc, 0, v9, vcc
	global_store_dwordx2 v[0:1], v[4:5], off
	global_store_dwordx2 v[0:1], v[6:7], off offset:2048
	s_endpgm
	.section	.rodata,"a",@progbits
	.p2align	6, 0x0
	.amdhsa_kernel _Z6kernelI10flag_headsxLj256ELj4ELb1ELj100EEvPKT0_PS1_
		.amdhsa_group_segment_fixed_size 4096
		.amdhsa_private_segment_fixed_size 0
		.amdhsa_kernarg_size 16
		.amdhsa_user_sgpr_count 2
		.amdhsa_user_sgpr_dispatch_ptr 0
		.amdhsa_user_sgpr_queue_ptr 0
		.amdhsa_user_sgpr_kernarg_segment_ptr 1
		.amdhsa_user_sgpr_dispatch_id 0
		.amdhsa_user_sgpr_kernarg_preload_length 0
		.amdhsa_user_sgpr_kernarg_preload_offset 0
		.amdhsa_user_sgpr_private_segment_size 0
		.amdhsa_uses_dynamic_stack 0
		.amdhsa_enable_private_segment 0
		.amdhsa_system_sgpr_workgroup_id_x 1
		.amdhsa_system_sgpr_workgroup_id_y 0
		.amdhsa_system_sgpr_workgroup_id_z 0
		.amdhsa_system_sgpr_workgroup_info 0
		.amdhsa_system_vgpr_workitem_id 0
		.amdhsa_next_free_vgpr 14
		.amdhsa_next_free_sgpr 10
		.amdhsa_accum_offset 16
		.amdhsa_reserve_vcc 1
		.amdhsa_float_round_mode_32 0
		.amdhsa_float_round_mode_16_64 0
		.amdhsa_float_denorm_mode_32 3
		.amdhsa_float_denorm_mode_16_64 3
		.amdhsa_dx10_clamp 1
		.amdhsa_ieee_mode 1
		.amdhsa_fp16_overflow 0
		.amdhsa_tg_split 0
		.amdhsa_exception_fp_ieee_invalid_op 0
		.amdhsa_exception_fp_denorm_src 0
		.amdhsa_exception_fp_ieee_div_zero 0
		.amdhsa_exception_fp_ieee_overflow 0
		.amdhsa_exception_fp_ieee_underflow 0
		.amdhsa_exception_fp_ieee_inexact 0
		.amdhsa_exception_int_div_zero 0
	.end_amdhsa_kernel
	.section	.text._Z6kernelI10flag_headsxLj256ELj4ELb1ELj100EEvPKT0_PS1_,"axG",@progbits,_Z6kernelI10flag_headsxLj256ELj4ELb1ELj100EEvPKT0_PS1_,comdat
.Lfunc_end38:
	.size	_Z6kernelI10flag_headsxLj256ELj4ELb1ELj100EEvPKT0_PS1_, .Lfunc_end38-_Z6kernelI10flag_headsxLj256ELj4ELb1ELj100EEvPKT0_PS1_
                                        ; -- End function
	.section	.AMDGPU.csdata,"",@progbits
; Kernel info:
; codeLenInByte = 364
; NumSgprs: 16
; NumVgprs: 14
; NumAgprs: 0
; TotalNumVgprs: 14
; ScratchSize: 0
; MemoryBound: 0
; FloatMode: 240
; IeeeMode: 1
; LDSByteSize: 4096 bytes/workgroup (compile time only)
; SGPRBlocks: 1
; VGPRBlocks: 1
; NumSGPRsForWavesPerEU: 16
; NumVGPRsForWavesPerEU: 14
; AccumOffset: 16
; Occupancy: 8
; WaveLimiterHint : 1
; COMPUTE_PGM_RSRC2:SCRATCH_EN: 0
; COMPUTE_PGM_RSRC2:USER_SGPR: 2
; COMPUTE_PGM_RSRC2:TRAP_HANDLER: 0
; COMPUTE_PGM_RSRC2:TGID_X_EN: 1
; COMPUTE_PGM_RSRC2:TGID_Y_EN: 0
; COMPUTE_PGM_RSRC2:TGID_Z_EN: 0
; COMPUTE_PGM_RSRC2:TIDIG_COMP_CNT: 0
; COMPUTE_PGM_RSRC3_GFX90A:ACCUM_OFFSET: 3
; COMPUTE_PGM_RSRC3_GFX90A:TG_SPLIT: 0
	.section	.text._Z6kernelI10flag_headsxLj256ELj8ELb1ELj100EEvPKT0_PS1_,"axG",@progbits,_Z6kernelI10flag_headsxLj256ELj8ELb1ELj100EEvPKT0_PS1_,comdat
	.protected	_Z6kernelI10flag_headsxLj256ELj8ELb1ELj100EEvPKT0_PS1_ ; -- Begin function _Z6kernelI10flag_headsxLj256ELj8ELb1ELj100EEvPKT0_PS1_
	.globl	_Z6kernelI10flag_headsxLj256ELj8ELb1ELj100EEvPKT0_PS1_
	.p2align	8
	.type	_Z6kernelI10flag_headsxLj256ELj8ELb1ELj100EEvPKT0_PS1_,@function
_Z6kernelI10flag_headsxLj256ELj8ELb1ELj100EEvPKT0_PS1_: ; @_Z6kernelI10flag_headsxLj256ELj8ELb1ELj100EEvPKT0_PS1_
; %bb.0:
	s_load_dwordx4 s[4:7], s[0:1], 0x0
	s_lshl_b32 s2, s2, 11
	s_mov_b32 s3, 0
	s_lshl_b64 s[8:9], s[2:3], 3
	v_mov_b32_e32 v7, 0
	s_waitcnt lgkmcnt(0)
	s_add_u32 s0, s4, s8
	s_addc_u32 s1, s5, s9
	v_lshlrev_b32_e32 v6, 3, v0
	v_lshl_add_u64 v[8:9], s[0:1], 0, v[6:7]
	s_movk_i32 s2, 0x1000
	v_add_co_u32_e32 v20, vcc, s2, v8
	s_movk_i32 s2, 0x2000
	s_nop 0
	v_addc_co_u32_e32 v21, vcc, 0, v9, vcc
	v_add_co_u32_e32 v10, vcc, s2, v8
	v_add_u32_e32 v1, -8, v6
	s_nop 0
	v_addc_co_u32_e32 v11, vcc, 0, v9, vcc
	v_add_co_u32_e32 v22, vcc, 0x3000, v8
	global_load_dwordx2 v[14:15], v6, s[0:1] offset:2048
	global_load_dwordx2 v[12:13], v[10:11], off offset:-4096
	global_load_dwordx2 v[4:5], v[10:11], off
	global_load_dwordx2 v[2:3], v[10:11], off offset:2048
	v_addc_co_u32_e32 v23, vcc, 0, v9, vcc
	global_load_dwordx2 v[16:17], v[20:21], off offset:2048
	global_load_dwordx2 v[8:9], v[22:23], off
	global_load_dwordx2 v[18:19], v6, s[0:1]
	global_load_dwordx2 v[10:11], v[22:23], off offset:2048
	v_cmp_ne_u32_e32 vcc, 0, v0
	s_movk_i32 s2, 0x64
	s_branch .LBB39_2
.LBB39_1:                               ;   in Loop: Header=BB39_2 Depth=1
	s_or_b64 exec, exec, s[0:1]
	s_waitcnt lgkmcnt(0)
	v_cmp_eq_u64_e64 s[0:1], v[20:21], v[18:19]
	v_mov_b32_e32 v21, s3
	s_add_i32 s2, s2, -1
	v_cndmask_b32_e64 v20, 0, 1, s[0:1]
	v_cmp_eq_u64_e64 s[0:1], v[18:19], v[14:15]
	v_lshl_add_u64 v[18:19], v[18:19], 0, v[20:21]
	s_cmp_lg_u32 s2, 0
	v_cndmask_b32_e64 v20, 0, 1, s[0:1]
	v_cmp_eq_u64_e64 s[0:1], v[14:15], v[12:13]
	v_lshl_add_u64 v[14:15], v[14:15], 0, v[20:21]
	s_nop 0
	v_cndmask_b32_e64 v20, 0, 1, s[0:1]
	v_cmp_eq_u64_e64 s[0:1], v[12:13], v[16:17]
	v_lshl_add_u64 v[12:13], v[12:13], 0, v[20:21]
	s_barrier
	v_cndmask_b32_e64 v20, 0, 1, s[0:1]
	v_cmp_eq_u64_e64 s[0:1], v[16:17], v[4:5]
	v_lshl_add_u64 v[16:17], v[16:17], 0, v[20:21]
	s_nop 0
	v_cndmask_b32_e64 v20, 0, 1, s[0:1]
	v_cmp_eq_u64_e64 s[0:1], v[4:5], v[2:3]
	v_lshl_add_u64 v[4:5], v[4:5], 0, v[20:21]
	s_nop 0
	;; [unrolled: 4-line block ×4, first 2 shown]
	v_cndmask_b32_e64 v20, 0, 1, s[0:1]
	v_lshl_add_u64 v[10:11], v[10:11], 0, v[20:21]
	s_cbranch_scc0 .LBB39_4
.LBB39_2:                               ; =>This Inner Loop Header: Depth=1
	v_mov_b64_e32 v[20:21], 0x7b
	s_waitcnt vmcnt(0)
	ds_write_b64 v6, v[10:11]
	s_waitcnt lgkmcnt(0)
	s_barrier
	s_and_saveexec_b64 s[0:1], vcc
	s_cbranch_execz .LBB39_1
; %bb.3:                                ;   in Loop: Header=BB39_2 Depth=1
	ds_read_b64 v[20:21], v1
	s_branch .LBB39_1
.LBB39_4:
	s_add_u32 s0, s6, s8
	s_addc_u32 s1, s7, s9
	v_lshlrev_b32_e32 v0, 3, v0
	v_mov_b32_e32 v1, 0
	v_lshl_add_u64 v[6:7], s[0:1], 0, v[0:1]
	global_store_dwordx2 v0, v[18:19], s[0:1]
	global_store_dwordx2 v0, v[14:15], s[0:1] offset:2048
	v_add_co_u32_e32 v0, vcc, 0x1000, v6
	s_nop 1
	v_addc_co_u32_e32 v1, vcc, 0, v7, vcc
	global_store_dwordx2 v[0:1], v[12:13], off
	global_store_dwordx2 v[0:1], v[16:17], off offset:2048
	v_add_co_u32_e32 v0, vcc, 0x2000, v6
	s_nop 1
	v_addc_co_u32_e32 v1, vcc, 0, v7, vcc
	global_store_dwordx2 v[0:1], v[4:5], off
	global_store_dwordx2 v[0:1], v[2:3], off offset:2048
	;; [unrolled: 5-line block ×3, first 2 shown]
	s_endpgm
	.section	.rodata,"a",@progbits
	.p2align	6, 0x0
	.amdhsa_kernel _Z6kernelI10flag_headsxLj256ELj8ELb1ELj100EEvPKT0_PS1_
		.amdhsa_group_segment_fixed_size 4096
		.amdhsa_private_segment_fixed_size 0
		.amdhsa_kernarg_size 16
		.amdhsa_user_sgpr_count 2
		.amdhsa_user_sgpr_dispatch_ptr 0
		.amdhsa_user_sgpr_queue_ptr 0
		.amdhsa_user_sgpr_kernarg_segment_ptr 1
		.amdhsa_user_sgpr_dispatch_id 0
		.amdhsa_user_sgpr_kernarg_preload_length 0
		.amdhsa_user_sgpr_kernarg_preload_offset 0
		.amdhsa_user_sgpr_private_segment_size 0
		.amdhsa_uses_dynamic_stack 0
		.amdhsa_enable_private_segment 0
		.amdhsa_system_sgpr_workgroup_id_x 1
		.amdhsa_system_sgpr_workgroup_id_y 0
		.amdhsa_system_sgpr_workgroup_id_z 0
		.amdhsa_system_sgpr_workgroup_info 0
		.amdhsa_system_vgpr_workitem_id 0
		.amdhsa_next_free_vgpr 24
		.amdhsa_next_free_sgpr 10
		.amdhsa_accum_offset 24
		.amdhsa_reserve_vcc 1
		.amdhsa_float_round_mode_32 0
		.amdhsa_float_round_mode_16_64 0
		.amdhsa_float_denorm_mode_32 3
		.amdhsa_float_denorm_mode_16_64 3
		.amdhsa_dx10_clamp 1
		.amdhsa_ieee_mode 1
		.amdhsa_fp16_overflow 0
		.amdhsa_tg_split 0
		.amdhsa_exception_fp_ieee_invalid_op 0
		.amdhsa_exception_fp_denorm_src 0
		.amdhsa_exception_fp_ieee_div_zero 0
		.amdhsa_exception_fp_ieee_overflow 0
		.amdhsa_exception_fp_ieee_underflow 0
		.amdhsa_exception_fp_ieee_inexact 0
		.amdhsa_exception_int_div_zero 0
	.end_amdhsa_kernel
	.section	.text._Z6kernelI10flag_headsxLj256ELj8ELb1ELj100EEvPKT0_PS1_,"axG",@progbits,_Z6kernelI10flag_headsxLj256ELj8ELb1ELj100EEvPKT0_PS1_,comdat
.Lfunc_end39:
	.size	_Z6kernelI10flag_headsxLj256ELj8ELb1ELj100EEvPKT0_PS1_, .Lfunc_end39-_Z6kernelI10flag_headsxLj256ELj8ELb1ELj100EEvPKT0_PS1_
                                        ; -- End function
	.section	.AMDGPU.csdata,"",@progbits
; Kernel info:
; codeLenInByte = 600
; NumSgprs: 16
; NumVgprs: 24
; NumAgprs: 0
; TotalNumVgprs: 24
; ScratchSize: 0
; MemoryBound: 0
; FloatMode: 240
; IeeeMode: 1
; LDSByteSize: 4096 bytes/workgroup (compile time only)
; SGPRBlocks: 1
; VGPRBlocks: 2
; NumSGPRsForWavesPerEU: 16
; NumVGPRsForWavesPerEU: 24
; AccumOffset: 24
; Occupancy: 8
; WaveLimiterHint : 1
; COMPUTE_PGM_RSRC2:SCRATCH_EN: 0
; COMPUTE_PGM_RSRC2:USER_SGPR: 2
; COMPUTE_PGM_RSRC2:TRAP_HANDLER: 0
; COMPUTE_PGM_RSRC2:TGID_X_EN: 1
; COMPUTE_PGM_RSRC2:TGID_Y_EN: 0
; COMPUTE_PGM_RSRC2:TGID_Z_EN: 0
; COMPUTE_PGM_RSRC2:TIDIG_COMP_CNT: 0
; COMPUTE_PGM_RSRC3_GFX90A:ACCUM_OFFSET: 5
; COMPUTE_PGM_RSRC3_GFX90A:TG_SPLIT: 0
	.section	.text._Z6kernelI10flag_tailsiLj256ELj1ELb0ELj100EEvPKT0_PS1_,"axG",@progbits,_Z6kernelI10flag_tailsiLj256ELj1ELb0ELj100EEvPKT0_PS1_,comdat
	.protected	_Z6kernelI10flag_tailsiLj256ELj1ELb0ELj100EEvPKT0_PS1_ ; -- Begin function _Z6kernelI10flag_tailsiLj256ELj1ELb0ELj100EEvPKT0_PS1_
	.globl	_Z6kernelI10flag_tailsiLj256ELj1ELb0ELj100EEvPKT0_PS1_
	.p2align	8
	.type	_Z6kernelI10flag_tailsiLj256ELj1ELb0ELj100EEvPKT0_PS1_,@function
_Z6kernelI10flag_tailsiLj256ELj1ELb0ELj100EEvPKT0_PS1_: ; @_Z6kernelI10flag_tailsiLj256ELj1ELb0ELj100EEvPKT0_PS1_
; %bb.0:
	s_load_dwordx4 s[4:7], s[0:1], 0x0
	s_lshl_b32 s0, s2, 8
	s_mov_b32 s1, 0
	s_lshl_b64 s[2:3], s[0:1], 2
	v_lshlrev_b32_e32 v2, 2, v0
	s_waitcnt lgkmcnt(0)
	s_add_u32 s0, s4, s2
	s_addc_u32 s1, s5, s3
	global_load_dword v1, v2, s[0:1]
	s_movk_i32 s0, 0xff
	v_cmp_ne_u32_e32 vcc, s0, v0
	v_or_b32_e32 v3, 0x400, v2
	s_movk_i32 s8, 0x64
	s_branch .LBB40_2
.LBB40_1:                               ;   in Loop: Header=BB40_2 Depth=1
	s_or_b64 exec, exec, s[4:5]
	s_add_i32 s8, s8, -1
	v_add_u32_e32 v1, v4, v1
	s_cmp_lg_u32 s8, 0
	s_barrier
	s_cbranch_scc0 .LBB40_4
.LBB40_2:                               ; =>This Inner Loop Header: Depth=1
	v_mov_b32_e32 v4, 1
	s_waitcnt vmcnt(0)
	ds_write_b32 v2, v1 offset:1024
	s_waitcnt lgkmcnt(0)
	s_barrier
	s_and_saveexec_b64 s[4:5], vcc
	s_cbranch_execz .LBB40_1
; %bb.3:                                ;   in Loop: Header=BB40_2 Depth=1
	ds_read_b32 v4, v3 offset:4
	s_waitcnt lgkmcnt(0)
	v_cmp_eq_u32_e64 s[0:1], v1, v4
	s_nop 1
	v_cndmask_b32_e64 v4, 0, 1, s[0:1]
	s_branch .LBB40_1
.LBB40_4:
	s_add_u32 s0, s6, s2
	s_addc_u32 s1, s7, s3
	v_lshlrev_b32_e32 v0, 2, v0
	global_store_dword v0, v1, s[0:1]
	s_endpgm
	.section	.rodata,"a",@progbits
	.p2align	6, 0x0
	.amdhsa_kernel _Z6kernelI10flag_tailsiLj256ELj1ELb0ELj100EEvPKT0_PS1_
		.amdhsa_group_segment_fixed_size 2048
		.amdhsa_private_segment_fixed_size 0
		.amdhsa_kernarg_size 16
		.amdhsa_user_sgpr_count 2
		.amdhsa_user_sgpr_dispatch_ptr 0
		.amdhsa_user_sgpr_queue_ptr 0
		.amdhsa_user_sgpr_kernarg_segment_ptr 1
		.amdhsa_user_sgpr_dispatch_id 0
		.amdhsa_user_sgpr_kernarg_preload_length 0
		.amdhsa_user_sgpr_kernarg_preload_offset 0
		.amdhsa_user_sgpr_private_segment_size 0
		.amdhsa_uses_dynamic_stack 0
		.amdhsa_enable_private_segment 0
		.amdhsa_system_sgpr_workgroup_id_x 1
		.amdhsa_system_sgpr_workgroup_id_y 0
		.amdhsa_system_sgpr_workgroup_id_z 0
		.amdhsa_system_sgpr_workgroup_info 0
		.amdhsa_system_vgpr_workitem_id 0
		.amdhsa_next_free_vgpr 5
		.amdhsa_next_free_sgpr 9
		.amdhsa_accum_offset 8
		.amdhsa_reserve_vcc 1
		.amdhsa_float_round_mode_32 0
		.amdhsa_float_round_mode_16_64 0
		.amdhsa_float_denorm_mode_32 3
		.amdhsa_float_denorm_mode_16_64 3
		.amdhsa_dx10_clamp 1
		.amdhsa_ieee_mode 1
		.amdhsa_fp16_overflow 0
		.amdhsa_tg_split 0
		.amdhsa_exception_fp_ieee_invalid_op 0
		.amdhsa_exception_fp_denorm_src 0
		.amdhsa_exception_fp_ieee_div_zero 0
		.amdhsa_exception_fp_ieee_overflow 0
		.amdhsa_exception_fp_ieee_underflow 0
		.amdhsa_exception_fp_ieee_inexact 0
		.amdhsa_exception_int_div_zero 0
	.end_amdhsa_kernel
	.section	.text._Z6kernelI10flag_tailsiLj256ELj1ELb0ELj100EEvPKT0_PS1_,"axG",@progbits,_Z6kernelI10flag_tailsiLj256ELj1ELb0ELj100EEvPKT0_PS1_,comdat
.Lfunc_end40:
	.size	_Z6kernelI10flag_tailsiLj256ELj1ELb0ELj100EEvPKT0_PS1_, .Lfunc_end40-_Z6kernelI10flag_tailsiLj256ELj1ELb0ELj100EEvPKT0_PS1_
                                        ; -- End function
	.section	.AMDGPU.csdata,"",@progbits
; Kernel info:
; codeLenInByte = 184
; NumSgprs: 15
; NumVgprs: 5
; NumAgprs: 0
; TotalNumVgprs: 5
; ScratchSize: 0
; MemoryBound: 0
; FloatMode: 240
; IeeeMode: 1
; LDSByteSize: 2048 bytes/workgroup (compile time only)
; SGPRBlocks: 1
; VGPRBlocks: 0
; NumSGPRsForWavesPerEU: 15
; NumVGPRsForWavesPerEU: 5
; AccumOffset: 8
; Occupancy: 8
; WaveLimiterHint : 0
; COMPUTE_PGM_RSRC2:SCRATCH_EN: 0
; COMPUTE_PGM_RSRC2:USER_SGPR: 2
; COMPUTE_PGM_RSRC2:TRAP_HANDLER: 0
; COMPUTE_PGM_RSRC2:TGID_X_EN: 1
; COMPUTE_PGM_RSRC2:TGID_Y_EN: 0
; COMPUTE_PGM_RSRC2:TGID_Z_EN: 0
; COMPUTE_PGM_RSRC2:TIDIG_COMP_CNT: 0
; COMPUTE_PGM_RSRC3_GFX90A:ACCUM_OFFSET: 1
; COMPUTE_PGM_RSRC3_GFX90A:TG_SPLIT: 0
	.section	.text._Z6kernelI10flag_tailsiLj256ELj2ELb0ELj100EEvPKT0_PS1_,"axG",@progbits,_Z6kernelI10flag_tailsiLj256ELj2ELb0ELj100EEvPKT0_PS1_,comdat
	.protected	_Z6kernelI10flag_tailsiLj256ELj2ELb0ELj100EEvPKT0_PS1_ ; -- Begin function _Z6kernelI10flag_tailsiLj256ELj2ELb0ELj100EEvPKT0_PS1_
	.globl	_Z6kernelI10flag_tailsiLj256ELj2ELb0ELj100EEvPKT0_PS1_
	.p2align	8
	.type	_Z6kernelI10flag_tailsiLj256ELj2ELb0ELj100EEvPKT0_PS1_,@function
_Z6kernelI10flag_tailsiLj256ELj2ELb0ELj100EEvPKT0_PS1_: ; @_Z6kernelI10flag_tailsiLj256ELj2ELb0ELj100EEvPKT0_PS1_
; %bb.0:
	s_load_dwordx4 s[4:7], s[0:1], 0x0
	s_lshl_b32 s0, s2, 9
	s_mov_b32 s1, 0
	s_lshl_b64 s[2:3], s[0:1], 2
	v_lshlrev_b32_e32 v3, 2, v0
	s_waitcnt lgkmcnt(0)
	s_add_u32 s0, s4, s2
	s_addc_u32 s1, s5, s3
	global_load_dword v1, v3, s[0:1]
	global_load_dword v2, v3, s[0:1] offset:1024
	s_movk_i32 s0, 0xff
	v_cmp_ne_u32_e32 vcc, s0, v0
	v_or_b32_e32 v4, 0x400, v3
	s_movk_i32 s8, 0x64
	s_branch .LBB41_2
.LBB41_1:                               ;   in Loop: Header=BB41_2 Depth=1
	s_or_b64 exec, exec, s[4:5]
	s_add_i32 s8, s8, -1
	v_add_u32_sdwa v1, v1, v5 dst_sel:DWORD dst_unused:UNUSED_PAD src0_sel:DWORD src1_sel:BYTE_0
	v_add_u32_sdwa v2, v2, v5 dst_sel:DWORD dst_unused:UNUSED_PAD src0_sel:DWORD src1_sel:BYTE_1
	s_cmp_lg_u32 s8, 0
	s_barrier
	s_cbranch_scc0 .LBB41_4
.LBB41_2:                               ; =>This Inner Loop Header: Depth=1
	s_waitcnt vmcnt(0)
	v_cmp_eq_u32_e64 s[0:1], v1, v2
	ds_write_b32 v3, v1 offset:1024
	s_waitcnt lgkmcnt(0)
	v_cndmask_b32_e64 v5, 0, 1, s[0:1]
	v_or_b32_e32 v5, 0x100, v5
	v_and_b32_e32 v5, 0xffff, v5
	s_barrier
	s_and_saveexec_b64 s[4:5], vcc
	s_cbranch_execz .LBB41_1
; %bb.3:                                ;   in Loop: Header=BB41_2 Depth=1
	ds_read_b32 v6, v4 offset:4
	s_waitcnt lgkmcnt(0)
	v_cmp_eq_u32_e64 s[0:1], v2, v6
	s_nop 1
	v_cndmask_b32_e64 v6, 0, 1, s[0:1]
	v_lshlrev_b16_e32 v6, 8, v6
	v_or_b32_sdwa v5, v5, v6 dst_sel:DWORD dst_unused:UNUSED_PAD src0_sel:BYTE_0 src1_sel:DWORD
	v_and_b32_e32 v5, 0xffff, v5
	s_branch .LBB41_1
.LBB41_4:
	s_add_u32 s0, s6, s2
	s_addc_u32 s1, s7, s3
	v_lshlrev_b32_e32 v0, 2, v0
	global_store_dword v0, v1, s[0:1]
	global_store_dword v0, v2, s[0:1] offset:1024
	s_endpgm
	.section	.rodata,"a",@progbits
	.p2align	6, 0x0
	.amdhsa_kernel _Z6kernelI10flag_tailsiLj256ELj2ELb0ELj100EEvPKT0_PS1_
		.amdhsa_group_segment_fixed_size 2048
		.amdhsa_private_segment_fixed_size 0
		.amdhsa_kernarg_size 16
		.amdhsa_user_sgpr_count 2
		.amdhsa_user_sgpr_dispatch_ptr 0
		.amdhsa_user_sgpr_queue_ptr 0
		.amdhsa_user_sgpr_kernarg_segment_ptr 1
		.amdhsa_user_sgpr_dispatch_id 0
		.amdhsa_user_sgpr_kernarg_preload_length 0
		.amdhsa_user_sgpr_kernarg_preload_offset 0
		.amdhsa_user_sgpr_private_segment_size 0
		.amdhsa_uses_dynamic_stack 0
		.amdhsa_enable_private_segment 0
		.amdhsa_system_sgpr_workgroup_id_x 1
		.amdhsa_system_sgpr_workgroup_id_y 0
		.amdhsa_system_sgpr_workgroup_id_z 0
		.amdhsa_system_sgpr_workgroup_info 0
		.amdhsa_system_vgpr_workitem_id 0
		.amdhsa_next_free_vgpr 7
		.amdhsa_next_free_sgpr 9
		.amdhsa_accum_offset 8
		.amdhsa_reserve_vcc 1
		.amdhsa_float_round_mode_32 0
		.amdhsa_float_round_mode_16_64 0
		.amdhsa_float_denorm_mode_32 3
		.amdhsa_float_denorm_mode_16_64 3
		.amdhsa_dx10_clamp 1
		.amdhsa_ieee_mode 1
		.amdhsa_fp16_overflow 0
		.amdhsa_tg_split 0
		.amdhsa_exception_fp_ieee_invalid_op 0
		.amdhsa_exception_fp_denorm_src 0
		.amdhsa_exception_fp_ieee_div_zero 0
		.amdhsa_exception_fp_ieee_overflow 0
		.amdhsa_exception_fp_ieee_underflow 0
		.amdhsa_exception_fp_ieee_inexact 0
		.amdhsa_exception_int_div_zero 0
	.end_amdhsa_kernel
	.section	.text._Z6kernelI10flag_tailsiLj256ELj2ELb0ELj100EEvPKT0_PS1_,"axG",@progbits,_Z6kernelI10flag_tailsiLj256ELj2ELb0ELj100EEvPKT0_PS1_,comdat
.Lfunc_end41:
	.size	_Z6kernelI10flag_tailsiLj256ELj2ELb0ELj100EEvPKT0_PS1_, .Lfunc_end41-_Z6kernelI10flag_tailsiLj256ELj2ELb0ELj100EEvPKT0_PS1_
                                        ; -- End function
	.section	.AMDGPU.csdata,"",@progbits
; Kernel info:
; codeLenInByte = 260
; NumSgprs: 15
; NumVgprs: 7
; NumAgprs: 0
; TotalNumVgprs: 7
; ScratchSize: 0
; MemoryBound: 0
; FloatMode: 240
; IeeeMode: 1
; LDSByteSize: 2048 bytes/workgroup (compile time only)
; SGPRBlocks: 1
; VGPRBlocks: 0
; NumSGPRsForWavesPerEU: 15
; NumVGPRsForWavesPerEU: 7
; AccumOffset: 8
; Occupancy: 8
; WaveLimiterHint : 1
; COMPUTE_PGM_RSRC2:SCRATCH_EN: 0
; COMPUTE_PGM_RSRC2:USER_SGPR: 2
; COMPUTE_PGM_RSRC2:TRAP_HANDLER: 0
; COMPUTE_PGM_RSRC2:TGID_X_EN: 1
; COMPUTE_PGM_RSRC2:TGID_Y_EN: 0
; COMPUTE_PGM_RSRC2:TGID_Z_EN: 0
; COMPUTE_PGM_RSRC2:TIDIG_COMP_CNT: 0
; COMPUTE_PGM_RSRC3_GFX90A:ACCUM_OFFSET: 1
; COMPUTE_PGM_RSRC3_GFX90A:TG_SPLIT: 0
	.section	.text._Z6kernelI10flag_tailsiLj256ELj3ELb0ELj100EEvPKT0_PS1_,"axG",@progbits,_Z6kernelI10flag_tailsiLj256ELj3ELb0ELj100EEvPKT0_PS1_,comdat
	.protected	_Z6kernelI10flag_tailsiLj256ELj3ELb0ELj100EEvPKT0_PS1_ ; -- Begin function _Z6kernelI10flag_tailsiLj256ELj3ELb0ELj100EEvPKT0_PS1_
	.globl	_Z6kernelI10flag_tailsiLj256ELj3ELb0ELj100EEvPKT0_PS1_
	.p2align	8
	.type	_Z6kernelI10flag_tailsiLj256ELj3ELb0ELj100EEvPKT0_PS1_,@function
_Z6kernelI10flag_tailsiLj256ELj3ELb0ELj100EEvPKT0_PS1_: ; @_Z6kernelI10flag_tailsiLj256ELj3ELb0ELj100EEvPKT0_PS1_
; %bb.0:
	s_load_dwordx4 s[4:7], s[0:1], 0x0
	s_mul_i32 s0, s2, 0x300
	s_mov_b32 s1, 0
	s_lshl_b64 s[2:3], s[0:1], 2
	v_lshlrev_b32_e32 v4, 2, v0
	s_waitcnt lgkmcnt(0)
	s_add_u32 s0, s4, s2
	s_addc_u32 s1, s5, s3
	global_load_dword v1, v4, s[0:1]
	global_load_dword v2, v4, s[0:1] offset:1024
	global_load_dword v3, v4, s[0:1] offset:2048
	s_movk_i32 s0, 0xff
	v_cmp_ne_u32_e32 vcc, s0, v0
	v_or_b32_e32 v5, 0x400, v4
	s_movk_i32 s8, 0x64
	s_mov_b32 s9, 0x10000
	v_mov_b32_e32 v6, 8
	s_branch .LBB42_2
.LBB42_1:                               ;   in Loop: Header=BB42_2 Depth=1
	s_or_b64 exec, exec, s[4:5]
	s_add_i32 s8, s8, -1
	v_add_u32_sdwa v1, v1, v7 dst_sel:DWORD dst_unused:UNUSED_PAD src0_sel:DWORD src1_sel:BYTE_0
	v_add_u32_sdwa v2, v2, v7 dst_sel:DWORD dst_unused:UNUSED_PAD src0_sel:DWORD src1_sel:BYTE_1
	v_add_u32_sdwa v3, v3, v7 dst_sel:DWORD dst_unused:UNUSED_PAD src0_sel:DWORD src1_sel:WORD_1
	s_cmp_lg_u32 s8, 0
	s_barrier
	s_cbranch_scc0 .LBB42_4
.LBB42_2:                               ; =>This Inner Loop Header: Depth=1
	s_waitcnt vmcnt(1)
	v_cmp_eq_u32_e64 s[0:1], v1, v2
	ds_write_b32 v4, v1 offset:1024
	s_waitcnt lgkmcnt(0)
	v_cndmask_b32_e64 v7, 0, 1, s[0:1]
	s_waitcnt vmcnt(0)
	v_cmp_eq_u32_e64 s[0:1], v2, v3
	s_barrier
	s_nop 0
	v_cndmask_b32_e64 v8, 0, 1, s[0:1]
	v_lshlrev_b16_e32 v8, 8, v8
	v_or_b32_e32 v7, v7, v8
	v_or_b32_sdwa v7, v7, s9 dst_sel:DWORD dst_unused:UNUSED_PAD src0_sel:WORD_0 src1_sel:DWORD
	s_and_saveexec_b64 s[4:5], vcc
	s_cbranch_execz .LBB42_1
; %bb.3:                                ;   in Loop: Header=BB42_2 Depth=1
	ds_read_b32 v8, v5 offset:4
	v_lshrrev_b32_sdwa v9, v6, v7 dst_sel:BYTE_1 dst_unused:UNUSED_PAD src0_sel:DWORD src1_sel:DWORD
	s_waitcnt lgkmcnt(0)
	v_cmp_eq_u32_e64 s[0:1], v3, v8
	v_or_b32_sdwa v7, v7, v9 dst_sel:DWORD dst_unused:UNUSED_PAD src0_sel:BYTE_0 src1_sel:DWORD
	v_and_b32_e32 v7, 0xffff, v7
	v_cndmask_b32_e64 v8, 0, 1, s[0:1]
	v_lshl_or_b32 v7, v8, 16, v7
	s_branch .LBB42_1
.LBB42_4:
	s_add_u32 s0, s6, s2
	s_addc_u32 s1, s7, s3
	v_lshlrev_b32_e32 v0, 2, v0
	global_store_dword v0, v1, s[0:1]
	global_store_dword v0, v2, s[0:1] offset:1024
	global_store_dword v0, v3, s[0:1] offset:2048
	s_endpgm
	.section	.rodata,"a",@progbits
	.p2align	6, 0x0
	.amdhsa_kernel _Z6kernelI10flag_tailsiLj256ELj3ELb0ELj100EEvPKT0_PS1_
		.amdhsa_group_segment_fixed_size 2048
		.amdhsa_private_segment_fixed_size 0
		.amdhsa_kernarg_size 16
		.amdhsa_user_sgpr_count 2
		.amdhsa_user_sgpr_dispatch_ptr 0
		.amdhsa_user_sgpr_queue_ptr 0
		.amdhsa_user_sgpr_kernarg_segment_ptr 1
		.amdhsa_user_sgpr_dispatch_id 0
		.amdhsa_user_sgpr_kernarg_preload_length 0
		.amdhsa_user_sgpr_kernarg_preload_offset 0
		.amdhsa_user_sgpr_private_segment_size 0
		.amdhsa_uses_dynamic_stack 0
		.amdhsa_enable_private_segment 0
		.amdhsa_system_sgpr_workgroup_id_x 1
		.amdhsa_system_sgpr_workgroup_id_y 0
		.amdhsa_system_sgpr_workgroup_id_z 0
		.amdhsa_system_sgpr_workgroup_info 0
		.amdhsa_system_vgpr_workitem_id 0
		.amdhsa_next_free_vgpr 10
		.amdhsa_next_free_sgpr 10
		.amdhsa_accum_offset 12
		.amdhsa_reserve_vcc 1
		.amdhsa_float_round_mode_32 0
		.amdhsa_float_round_mode_16_64 0
		.amdhsa_float_denorm_mode_32 3
		.amdhsa_float_denorm_mode_16_64 3
		.amdhsa_dx10_clamp 1
		.amdhsa_ieee_mode 1
		.amdhsa_fp16_overflow 0
		.amdhsa_tg_split 0
		.amdhsa_exception_fp_ieee_invalid_op 0
		.amdhsa_exception_fp_denorm_src 0
		.amdhsa_exception_fp_ieee_div_zero 0
		.amdhsa_exception_fp_ieee_overflow 0
		.amdhsa_exception_fp_ieee_underflow 0
		.amdhsa_exception_fp_ieee_inexact 0
		.amdhsa_exception_int_div_zero 0
	.end_amdhsa_kernel
	.section	.text._Z6kernelI10flag_tailsiLj256ELj3ELb0ELj100EEvPKT0_PS1_,"axG",@progbits,_Z6kernelI10flag_tailsiLj256ELj3ELb0ELj100EEvPKT0_PS1_,comdat
.Lfunc_end42:
	.size	_Z6kernelI10flag_tailsiLj256ELj3ELb0ELj100EEvPKT0_PS1_, .Lfunc_end42-_Z6kernelI10flag_tailsiLj256ELj3ELb0ELj100EEvPKT0_PS1_
                                        ; -- End function
	.section	.AMDGPU.csdata,"",@progbits
; Kernel info:
; codeLenInByte = 332
; NumSgprs: 16
; NumVgprs: 10
; NumAgprs: 0
; TotalNumVgprs: 10
; ScratchSize: 0
; MemoryBound: 0
; FloatMode: 240
; IeeeMode: 1
; LDSByteSize: 2048 bytes/workgroup (compile time only)
; SGPRBlocks: 1
; VGPRBlocks: 1
; NumSGPRsForWavesPerEU: 16
; NumVGPRsForWavesPerEU: 10
; AccumOffset: 12
; Occupancy: 8
; WaveLimiterHint : 1
; COMPUTE_PGM_RSRC2:SCRATCH_EN: 0
; COMPUTE_PGM_RSRC2:USER_SGPR: 2
; COMPUTE_PGM_RSRC2:TRAP_HANDLER: 0
; COMPUTE_PGM_RSRC2:TGID_X_EN: 1
; COMPUTE_PGM_RSRC2:TGID_Y_EN: 0
; COMPUTE_PGM_RSRC2:TGID_Z_EN: 0
; COMPUTE_PGM_RSRC2:TIDIG_COMP_CNT: 0
; COMPUTE_PGM_RSRC3_GFX90A:ACCUM_OFFSET: 2
; COMPUTE_PGM_RSRC3_GFX90A:TG_SPLIT: 0
	.section	.text._Z6kernelI10flag_tailsiLj256ELj4ELb0ELj100EEvPKT0_PS1_,"axG",@progbits,_Z6kernelI10flag_tailsiLj256ELj4ELb0ELj100EEvPKT0_PS1_,comdat
	.protected	_Z6kernelI10flag_tailsiLj256ELj4ELb0ELj100EEvPKT0_PS1_ ; -- Begin function _Z6kernelI10flag_tailsiLj256ELj4ELb0ELj100EEvPKT0_PS1_
	.globl	_Z6kernelI10flag_tailsiLj256ELj4ELb0ELj100EEvPKT0_PS1_
	.p2align	8
	.type	_Z6kernelI10flag_tailsiLj256ELj4ELb0ELj100EEvPKT0_PS1_,@function
_Z6kernelI10flag_tailsiLj256ELj4ELb0ELj100EEvPKT0_PS1_: ; @_Z6kernelI10flag_tailsiLj256ELj4ELb0ELj100EEvPKT0_PS1_
; %bb.0:
	s_load_dwordx4 s[4:7], s[0:1], 0x0
	s_lshl_b32 s0, s2, 10
	s_mov_b32 s1, 0
	s_lshl_b64 s[2:3], s[0:1], 2
	v_lshlrev_b32_e32 v5, 2, v0
	s_waitcnt lgkmcnt(0)
	s_add_u32 s0, s4, s2
	s_addc_u32 s1, s5, s3
	global_load_dword v1, v5, s[0:1]
	global_load_dword v2, v5, s[0:1] offset:1024
	global_load_dword v3, v5, s[0:1] offset:2048
	;; [unrolled: 1-line block ×3, first 2 shown]
	s_movk_i32 s8, 0xff
	v_cmp_ne_u32_e32 vcc, s8, v0
	v_or_b32_e32 v6, 0x400, v5
	s_movk_i32 s9, 0x64
	s_mov_b32 s10, 0xffff
	s_movk_i32 s11, 0x100
	s_branch .LBB43_2
.LBB43_1:                               ;   in Loop: Header=BB43_2 Depth=1
	s_or_b64 exec, exec, s[4:5]
	s_add_i32 s9, s9, -1
	v_add_u32_sdwa v1, v1, v7 dst_sel:DWORD dst_unused:UNUSED_PAD src0_sel:DWORD src1_sel:BYTE_0
	v_add_u32_sdwa v2, v2, v7 dst_sel:DWORD dst_unused:UNUSED_PAD src0_sel:DWORD src1_sel:BYTE_1
	v_add_u32_sdwa v3, v3, v7 dst_sel:DWORD dst_unused:UNUSED_PAD src0_sel:DWORD src1_sel:BYTE_2
	v_add_u32_sdwa v4, v4, v7 dst_sel:DWORD dst_unused:UNUSED_PAD src0_sel:DWORD src1_sel:BYTE_3
	s_cmp_lg_u32 s9, 0
	s_barrier
	s_cbranch_scc0 .LBB43_4
.LBB43_2:                               ; =>This Inner Loop Header: Depth=1
	s_waitcnt vmcnt(2)
	v_cmp_eq_u32_e64 s[0:1], v1, v2
	ds_write_b32 v5, v1 offset:1024
	s_waitcnt lgkmcnt(0)
	v_cndmask_b32_e64 v7, 0, 1, s[0:1]
	s_waitcnt vmcnt(1)
	v_cmp_eq_u32_e64 s[0:1], v2, v3
	s_barrier
	s_nop 0
	v_cndmask_b32_e64 v8, 0, 1, s[0:1]
	s_waitcnt vmcnt(0)
	v_cmp_eq_u32_e64 s[0:1], v3, v4
	v_lshlrev_b16_e32 v8, 8, v8
	v_or_b32_e32 v7, v7, v8
	v_cndmask_b32_e64 v9, 0, 1, s[0:1]
	v_or_b32_sdwa v8, v9, s11 dst_sel:WORD_1 dst_unused:UNUSED_PAD src0_sel:DWORD src1_sel:DWORD
	s_nop 0
	v_or_b32_sdwa v7, v7, v8 dst_sel:DWORD dst_unused:UNUSED_PAD src0_sel:WORD_0 src1_sel:DWORD
	s_and_saveexec_b64 s[4:5], vcc
	s_cbranch_execz .LBB43_1
; %bb.3:                                ;   in Loop: Header=BB43_2 Depth=1
	ds_read_b32 v8, v6 offset:4
	v_and_b32_sdwa v9, v7, s8 dst_sel:DWORD dst_unused:UNUSED_PAD src0_sel:WORD_1 src1_sel:DWORD
	s_waitcnt lgkmcnt(0)
	v_cmp_eq_u32_e64 s[0:1], v4, v8
	s_nop 1
	v_cndmask_b32_e64 v8, 0, 1, s[0:1]
	v_lshlrev_b16_e32 v8, 8, v8
	v_or_b32_sdwa v8, v9, v8 dst_sel:WORD_1 dst_unused:UNUSED_PAD src0_sel:DWORD src1_sel:DWORD
	s_nop 0
	v_and_or_b32 v7, v7, s10, v8
	s_branch .LBB43_1
.LBB43_4:
	s_add_u32 s0, s6, s2
	s_addc_u32 s1, s7, s3
	v_lshlrev_b32_e32 v0, 2, v0
	global_store_dword v0, v1, s[0:1]
	global_store_dword v0, v2, s[0:1] offset:1024
	global_store_dword v0, v3, s[0:1] offset:2048
	;; [unrolled: 1-line block ×3, first 2 shown]
	s_endpgm
	.section	.rodata,"a",@progbits
	.p2align	6, 0x0
	.amdhsa_kernel _Z6kernelI10flag_tailsiLj256ELj4ELb0ELj100EEvPKT0_PS1_
		.amdhsa_group_segment_fixed_size 2048
		.amdhsa_private_segment_fixed_size 0
		.amdhsa_kernarg_size 16
		.amdhsa_user_sgpr_count 2
		.amdhsa_user_sgpr_dispatch_ptr 0
		.amdhsa_user_sgpr_queue_ptr 0
		.amdhsa_user_sgpr_kernarg_segment_ptr 1
		.amdhsa_user_sgpr_dispatch_id 0
		.amdhsa_user_sgpr_kernarg_preload_length 0
		.amdhsa_user_sgpr_kernarg_preload_offset 0
		.amdhsa_user_sgpr_private_segment_size 0
		.amdhsa_uses_dynamic_stack 0
		.amdhsa_enable_private_segment 0
		.amdhsa_system_sgpr_workgroup_id_x 1
		.amdhsa_system_sgpr_workgroup_id_y 0
		.amdhsa_system_sgpr_workgroup_id_z 0
		.amdhsa_system_sgpr_workgroup_info 0
		.amdhsa_system_vgpr_workitem_id 0
		.amdhsa_next_free_vgpr 10
		.amdhsa_next_free_sgpr 12
		.amdhsa_accum_offset 12
		.amdhsa_reserve_vcc 1
		.amdhsa_float_round_mode_32 0
		.amdhsa_float_round_mode_16_64 0
		.amdhsa_float_denorm_mode_32 3
		.amdhsa_float_denorm_mode_16_64 3
		.amdhsa_dx10_clamp 1
		.amdhsa_ieee_mode 1
		.amdhsa_fp16_overflow 0
		.amdhsa_tg_split 0
		.amdhsa_exception_fp_ieee_invalid_op 0
		.amdhsa_exception_fp_denorm_src 0
		.amdhsa_exception_fp_ieee_div_zero 0
		.amdhsa_exception_fp_ieee_overflow 0
		.amdhsa_exception_fp_ieee_underflow 0
		.amdhsa_exception_fp_ieee_inexact 0
		.amdhsa_exception_int_div_zero 0
	.end_amdhsa_kernel
	.section	.text._Z6kernelI10flag_tailsiLj256ELj4ELb0ELj100EEvPKT0_PS1_,"axG",@progbits,_Z6kernelI10flag_tailsiLj256ELj4ELb0ELj100EEvPKT0_PS1_,comdat
.Lfunc_end43:
	.size	_Z6kernelI10flag_tailsiLj256ELj4ELb0ELj100EEvPKT0_PS1_, .Lfunc_end43-_Z6kernelI10flag_tailsiLj256ELj4ELb0ELj100EEvPKT0_PS1_
                                        ; -- End function
	.section	.AMDGPU.csdata,"",@progbits
; Kernel info:
; codeLenInByte = 388
; NumSgprs: 18
; NumVgprs: 10
; NumAgprs: 0
; TotalNumVgprs: 10
; ScratchSize: 0
; MemoryBound: 0
; FloatMode: 240
; IeeeMode: 1
; LDSByteSize: 2048 bytes/workgroup (compile time only)
; SGPRBlocks: 2
; VGPRBlocks: 1
; NumSGPRsForWavesPerEU: 18
; NumVGPRsForWavesPerEU: 10
; AccumOffset: 12
; Occupancy: 8
; WaveLimiterHint : 1
; COMPUTE_PGM_RSRC2:SCRATCH_EN: 0
; COMPUTE_PGM_RSRC2:USER_SGPR: 2
; COMPUTE_PGM_RSRC2:TRAP_HANDLER: 0
; COMPUTE_PGM_RSRC2:TGID_X_EN: 1
; COMPUTE_PGM_RSRC2:TGID_Y_EN: 0
; COMPUTE_PGM_RSRC2:TGID_Z_EN: 0
; COMPUTE_PGM_RSRC2:TIDIG_COMP_CNT: 0
; COMPUTE_PGM_RSRC3_GFX90A:ACCUM_OFFSET: 2
; COMPUTE_PGM_RSRC3_GFX90A:TG_SPLIT: 0
	.section	.text._Z6kernelI10flag_tailsiLj256ELj8ELb0ELj100EEvPKT0_PS1_,"axG",@progbits,_Z6kernelI10flag_tailsiLj256ELj8ELb0ELj100EEvPKT0_PS1_,comdat
	.protected	_Z6kernelI10flag_tailsiLj256ELj8ELb0ELj100EEvPKT0_PS1_ ; -- Begin function _Z6kernelI10flag_tailsiLj256ELj8ELb0ELj100EEvPKT0_PS1_
	.globl	_Z6kernelI10flag_tailsiLj256ELj8ELb0ELj100EEvPKT0_PS1_
	.p2align	8
	.type	_Z6kernelI10flag_tailsiLj256ELj8ELb0ELj100EEvPKT0_PS1_,@function
_Z6kernelI10flag_tailsiLj256ELj8ELb0ELj100EEvPKT0_PS1_: ; @_Z6kernelI10flag_tailsiLj256ELj8ELb0ELj100EEvPKT0_PS1_
; %bb.0:
	s_load_dwordx4 s[4:7], s[0:1], 0x0
	s_lshl_b32 s0, s2, 11
	s_mov_b32 s1, 0
	s_lshl_b64 s[2:3], s[0:1], 2
	v_mov_b32_e32 v3, 0
	s_waitcnt lgkmcnt(0)
	s_add_u32 s0, s4, s2
	s_addc_u32 s1, s5, s3
	v_lshlrev_b32_e32 v2, 2, v0
	v_lshl_add_u64 v[6:7], s[0:1], 0, v[2:3]
	s_movk_i32 s4, 0x1000
	v_add_co_u32_e32 v10, vcc, s4, v6
	global_load_dword v1, v2, s[0:1] offset:1024
	global_load_dword v3, v2, s[0:1] offset:2048
	;; [unrolled: 1-line block ×3, first 2 shown]
	v_addc_co_u32_e32 v11, vcc, 0, v7, vcc
	global_load_dword v5, v[10:11], off
	global_load_dword v6, v[10:11], off offset:1024
	global_load_dword v7, v[10:11], off offset:2048
	global_load_dword v9, v2, s[0:1]
	global_load_dword v8, v[10:11], off offset:3072
	s_movk_i32 s0, 0xff
	v_cmp_ne_u32_e32 vcc, s0, v0
	v_or_b32_e32 v10, 0x400, v2
	s_movk_i32 s8, 0x64
	s_branch .LBB44_2
.LBB44_1:                               ;   in Loop: Header=BB44_2 Depth=1
	s_or_b64 exec, exec, s[4:5]
	v_cmp_eq_u32_e64 s[0:1], v9, v1
	s_add_i32 s8, s8, -1
	s_cmp_lg_u32 s8, 0
	v_addc_co_u32_e64 v9, s[0:1], 0, v9, s[0:1]
	v_cmp_eq_u32_e64 s[0:1], v1, v3
	s_barrier
	s_nop 0
	v_addc_co_u32_e64 v1, s[0:1], 0, v1, s[0:1]
	v_cmp_eq_u32_e64 s[0:1], v3, v4
	s_nop 1
	v_addc_co_u32_e64 v3, s[0:1], 0, v3, s[0:1]
	v_cmp_eq_u32_e64 s[0:1], v4, v5
	;; [unrolled: 3-line block ×4, first 2 shown]
	s_nop 1
	v_addc_co_u32_e64 v6, s[0:1], 0, v6, s[0:1]
	s_waitcnt vmcnt(0)
	v_cmp_eq_u32_e64 s[0:1], v7, v8
	v_add_u32_e32 v8, v11, v8
	s_nop 0
	v_addc_co_u32_e64 v7, s[0:1], 0, v7, s[0:1]
	s_cbranch_scc0 .LBB44_4
.LBB44_2:                               ; =>This Inner Loop Header: Depth=1
	v_mov_b32_e32 v11, 1
	s_waitcnt vmcnt(1)
	ds_write_b32 v2, v9 offset:1024
	s_waitcnt lgkmcnt(0)
	s_barrier
	s_and_saveexec_b64 s[4:5], vcc
	s_cbranch_execz .LBB44_1
; %bb.3:                                ;   in Loop: Header=BB44_2 Depth=1
	ds_read_b32 v11, v10 offset:4
	s_waitcnt vmcnt(0) lgkmcnt(0)
	v_cmp_eq_u32_e64 s[0:1], v8, v11
	s_nop 1
	v_cndmask_b32_e64 v11, 0, 1, s[0:1]
	s_branch .LBB44_1
.LBB44_4:
	s_add_u32 s0, s6, s2
	s_addc_u32 s1, s7, s3
	v_lshlrev_b32_e32 v10, 2, v0
	v_mov_b32_e32 v11, 0
	v_lshl_add_u64 v[12:13], s[0:1], 0, v[10:11]
	v_add_co_u32_e32 v0, vcc, 0x1000, v12
	global_store_dword v10, v9, s[0:1]
	global_store_dword v10, v1, s[0:1] offset:1024
	global_store_dword v10, v3, s[0:1] offset:2048
	global_store_dword v10, v4, s[0:1] offset:3072
	v_addc_co_u32_e32 v1, vcc, 0, v13, vcc
	global_store_dword v[0:1], v5, off
	global_store_dword v[0:1], v6, off offset:1024
	global_store_dword v[0:1], v7, off offset:2048
	;; [unrolled: 1-line block ×3, first 2 shown]
	s_endpgm
	.section	.rodata,"a",@progbits
	.p2align	6, 0x0
	.amdhsa_kernel _Z6kernelI10flag_tailsiLj256ELj8ELb0ELj100EEvPKT0_PS1_
		.amdhsa_group_segment_fixed_size 2048
		.amdhsa_private_segment_fixed_size 0
		.amdhsa_kernarg_size 16
		.amdhsa_user_sgpr_count 2
		.amdhsa_user_sgpr_dispatch_ptr 0
		.amdhsa_user_sgpr_queue_ptr 0
		.amdhsa_user_sgpr_kernarg_segment_ptr 1
		.amdhsa_user_sgpr_dispatch_id 0
		.amdhsa_user_sgpr_kernarg_preload_length 0
		.amdhsa_user_sgpr_kernarg_preload_offset 0
		.amdhsa_user_sgpr_private_segment_size 0
		.amdhsa_uses_dynamic_stack 0
		.amdhsa_enable_private_segment 0
		.amdhsa_system_sgpr_workgroup_id_x 1
		.amdhsa_system_sgpr_workgroup_id_y 0
		.amdhsa_system_sgpr_workgroup_id_z 0
		.amdhsa_system_sgpr_workgroup_info 0
		.amdhsa_system_vgpr_workitem_id 0
		.amdhsa_next_free_vgpr 14
		.amdhsa_next_free_sgpr 9
		.amdhsa_accum_offset 16
		.amdhsa_reserve_vcc 1
		.amdhsa_float_round_mode_32 0
		.amdhsa_float_round_mode_16_64 0
		.amdhsa_float_denorm_mode_32 3
		.amdhsa_float_denorm_mode_16_64 3
		.amdhsa_dx10_clamp 1
		.amdhsa_ieee_mode 1
		.amdhsa_fp16_overflow 0
		.amdhsa_tg_split 0
		.amdhsa_exception_fp_ieee_invalid_op 0
		.amdhsa_exception_fp_denorm_src 0
		.amdhsa_exception_fp_ieee_div_zero 0
		.amdhsa_exception_fp_ieee_overflow 0
		.amdhsa_exception_fp_ieee_underflow 0
		.amdhsa_exception_fp_ieee_inexact 0
		.amdhsa_exception_int_div_zero 0
	.end_amdhsa_kernel
	.section	.text._Z6kernelI10flag_tailsiLj256ELj8ELb0ELj100EEvPKT0_PS1_,"axG",@progbits,_Z6kernelI10flag_tailsiLj256ELj8ELb0ELj100EEvPKT0_PS1_,comdat
.Lfunc_end44:
	.size	_Z6kernelI10flag_tailsiLj256ELj8ELb0ELj100EEvPKT0_PS1_, .Lfunc_end44-_Z6kernelI10flag_tailsiLj256ELj8ELb0ELj100EEvPKT0_PS1_
                                        ; -- End function
	.section	.AMDGPU.csdata,"",@progbits
; Kernel info:
; codeLenInByte = 484
; NumSgprs: 15
; NumVgprs: 14
; NumAgprs: 0
; TotalNumVgprs: 14
; ScratchSize: 0
; MemoryBound: 0
; FloatMode: 240
; IeeeMode: 1
; LDSByteSize: 2048 bytes/workgroup (compile time only)
; SGPRBlocks: 1
; VGPRBlocks: 1
; NumSGPRsForWavesPerEU: 15
; NumVGPRsForWavesPerEU: 14
; AccumOffset: 16
; Occupancy: 8
; WaveLimiterHint : 1
; COMPUTE_PGM_RSRC2:SCRATCH_EN: 0
; COMPUTE_PGM_RSRC2:USER_SGPR: 2
; COMPUTE_PGM_RSRC2:TRAP_HANDLER: 0
; COMPUTE_PGM_RSRC2:TGID_X_EN: 1
; COMPUTE_PGM_RSRC2:TGID_Y_EN: 0
; COMPUTE_PGM_RSRC2:TGID_Z_EN: 0
; COMPUTE_PGM_RSRC2:TIDIG_COMP_CNT: 0
; COMPUTE_PGM_RSRC3_GFX90A:ACCUM_OFFSET: 3
; COMPUTE_PGM_RSRC3_GFX90A:TG_SPLIT: 0
	.section	.text._Z6kernelI10flag_tailsiLj256ELj1ELb1ELj100EEvPKT0_PS1_,"axG",@progbits,_Z6kernelI10flag_tailsiLj256ELj1ELb1ELj100EEvPKT0_PS1_,comdat
	.protected	_Z6kernelI10flag_tailsiLj256ELj1ELb1ELj100EEvPKT0_PS1_ ; -- Begin function _Z6kernelI10flag_tailsiLj256ELj1ELb1ELj100EEvPKT0_PS1_
	.globl	_Z6kernelI10flag_tailsiLj256ELj1ELb1ELj100EEvPKT0_PS1_
	.p2align	8
	.type	_Z6kernelI10flag_tailsiLj256ELj1ELb1ELj100EEvPKT0_PS1_,@function
_Z6kernelI10flag_tailsiLj256ELj1ELb1ELj100EEvPKT0_PS1_: ; @_Z6kernelI10flag_tailsiLj256ELj1ELb1ELj100EEvPKT0_PS1_
; %bb.0:
	s_load_dwordx4 s[4:7], s[0:1], 0x0
	s_lshl_b32 s0, s2, 8
	s_mov_b32 s1, 0
	s_lshl_b64 s[2:3], s[0:1], 2
	v_lshlrev_b32_e32 v2, 2, v0
	s_waitcnt lgkmcnt(0)
	s_add_u32 s0, s4, s2
	s_addc_u32 s1, s5, s3
	global_load_dword v1, v2, s[0:1]
	s_movk_i32 s0, 0xff
	v_cmp_ne_u32_e32 vcc, s0, v0
	v_or_b32_e32 v3, 0x400, v2
	s_movk_i32 s4, 0x64
	s_branch .LBB45_2
.LBB45_1:                               ;   in Loop: Header=BB45_2 Depth=1
	s_or_b64 exec, exec, s[0:1]
	s_waitcnt lgkmcnt(0)
	v_cmp_eq_u32_e64 s[0:1], v1, v4
	s_add_i32 s4, s4, -1
	s_cmp_lg_u32 s4, 0
	v_addc_co_u32_e64 v1, s[0:1], 0, v1, s[0:1]
	s_barrier
	s_cbranch_scc0 .LBB45_4
.LBB45_2:                               ; =>This Inner Loop Header: Depth=1
	v_mov_b32_e32 v4, 0x7b
	s_waitcnt vmcnt(0)
	ds_write_b32 v2, v1 offset:1024
	s_waitcnt lgkmcnt(0)
	s_barrier
	s_and_saveexec_b64 s[0:1], vcc
	s_cbranch_execz .LBB45_1
; %bb.3:                                ;   in Loop: Header=BB45_2 Depth=1
	ds_read_b32 v4, v3 offset:4
	s_branch .LBB45_1
.LBB45_4:
	s_add_u32 s0, s6, s2
	s_addc_u32 s1, s7, s3
	v_lshlrev_b32_e32 v0, 2, v0
	global_store_dword v0, v1, s[0:1]
	s_endpgm
	.section	.rodata,"a",@progbits
	.p2align	6, 0x0
	.amdhsa_kernel _Z6kernelI10flag_tailsiLj256ELj1ELb1ELj100EEvPKT0_PS1_
		.amdhsa_group_segment_fixed_size 2048
		.amdhsa_private_segment_fixed_size 0
		.amdhsa_kernarg_size 16
		.amdhsa_user_sgpr_count 2
		.amdhsa_user_sgpr_dispatch_ptr 0
		.amdhsa_user_sgpr_queue_ptr 0
		.amdhsa_user_sgpr_kernarg_segment_ptr 1
		.amdhsa_user_sgpr_dispatch_id 0
		.amdhsa_user_sgpr_kernarg_preload_length 0
		.amdhsa_user_sgpr_kernarg_preload_offset 0
		.amdhsa_user_sgpr_private_segment_size 0
		.amdhsa_uses_dynamic_stack 0
		.amdhsa_enable_private_segment 0
		.amdhsa_system_sgpr_workgroup_id_x 1
		.amdhsa_system_sgpr_workgroup_id_y 0
		.amdhsa_system_sgpr_workgroup_id_z 0
		.amdhsa_system_sgpr_workgroup_info 0
		.amdhsa_system_vgpr_workitem_id 0
		.amdhsa_next_free_vgpr 5
		.amdhsa_next_free_sgpr 8
		.amdhsa_accum_offset 8
		.amdhsa_reserve_vcc 1
		.amdhsa_float_round_mode_32 0
		.amdhsa_float_round_mode_16_64 0
		.amdhsa_float_denorm_mode_32 3
		.amdhsa_float_denorm_mode_16_64 3
		.amdhsa_dx10_clamp 1
		.amdhsa_ieee_mode 1
		.amdhsa_fp16_overflow 0
		.amdhsa_tg_split 0
		.amdhsa_exception_fp_ieee_invalid_op 0
		.amdhsa_exception_fp_denorm_src 0
		.amdhsa_exception_fp_ieee_div_zero 0
		.amdhsa_exception_fp_ieee_overflow 0
		.amdhsa_exception_fp_ieee_underflow 0
		.amdhsa_exception_fp_ieee_inexact 0
		.amdhsa_exception_int_div_zero 0
	.end_amdhsa_kernel
	.section	.text._Z6kernelI10flag_tailsiLj256ELj1ELb1ELj100EEvPKT0_PS1_,"axG",@progbits,_Z6kernelI10flag_tailsiLj256ELj1ELb1ELj100EEvPKT0_PS1_,comdat
.Lfunc_end45:
	.size	_Z6kernelI10flag_tailsiLj256ELj1ELb1ELj100EEvPKT0_PS1_, .Lfunc_end45-_Z6kernelI10flag_tailsiLj256ELj1ELb1ELj100EEvPKT0_PS1_
                                        ; -- End function
	.section	.AMDGPU.csdata,"",@progbits
; Kernel info:
; codeLenInByte = 180
; NumSgprs: 14
; NumVgprs: 5
; NumAgprs: 0
; TotalNumVgprs: 5
; ScratchSize: 0
; MemoryBound: 0
; FloatMode: 240
; IeeeMode: 1
; LDSByteSize: 2048 bytes/workgroup (compile time only)
; SGPRBlocks: 1
; VGPRBlocks: 0
; NumSGPRsForWavesPerEU: 14
; NumVGPRsForWavesPerEU: 5
; AccumOffset: 8
; Occupancy: 8
; WaveLimiterHint : 0
; COMPUTE_PGM_RSRC2:SCRATCH_EN: 0
; COMPUTE_PGM_RSRC2:USER_SGPR: 2
; COMPUTE_PGM_RSRC2:TRAP_HANDLER: 0
; COMPUTE_PGM_RSRC2:TGID_X_EN: 1
; COMPUTE_PGM_RSRC2:TGID_Y_EN: 0
; COMPUTE_PGM_RSRC2:TGID_Z_EN: 0
; COMPUTE_PGM_RSRC2:TIDIG_COMP_CNT: 0
; COMPUTE_PGM_RSRC3_GFX90A:ACCUM_OFFSET: 1
; COMPUTE_PGM_RSRC3_GFX90A:TG_SPLIT: 0
	.section	.text._Z6kernelI10flag_tailsiLj256ELj2ELb1ELj100EEvPKT0_PS1_,"axG",@progbits,_Z6kernelI10flag_tailsiLj256ELj2ELb1ELj100EEvPKT0_PS1_,comdat
	.protected	_Z6kernelI10flag_tailsiLj256ELj2ELb1ELj100EEvPKT0_PS1_ ; -- Begin function _Z6kernelI10flag_tailsiLj256ELj2ELb1ELj100EEvPKT0_PS1_
	.globl	_Z6kernelI10flag_tailsiLj256ELj2ELb1ELj100EEvPKT0_PS1_
	.p2align	8
	.type	_Z6kernelI10flag_tailsiLj256ELj2ELb1ELj100EEvPKT0_PS1_,@function
_Z6kernelI10flag_tailsiLj256ELj2ELb1ELj100EEvPKT0_PS1_: ; @_Z6kernelI10flag_tailsiLj256ELj2ELb1ELj100EEvPKT0_PS1_
; %bb.0:
	s_load_dwordx4 s[4:7], s[0:1], 0x0
	s_lshl_b32 s0, s2, 9
	s_mov_b32 s1, 0
	s_lshl_b64 s[2:3], s[0:1], 2
	v_lshlrev_b32_e32 v3, 2, v0
	s_waitcnt lgkmcnt(0)
	s_add_u32 s0, s4, s2
	s_addc_u32 s1, s5, s3
	global_load_dword v1, v3, s[0:1]
	global_load_dword v2, v3, s[0:1] offset:1024
	s_movk_i32 s0, 0xff
	v_cmp_ne_u32_e32 vcc, s0, v0
	v_or_b32_e32 v4, 0x400, v3
	s_movk_i32 s4, 0x64
	s_branch .LBB46_2
.LBB46_1:                               ;   in Loop: Header=BB46_2 Depth=1
	s_or_b64 exec, exec, s[0:1]
	s_waitcnt vmcnt(0)
	v_cmp_eq_u32_e64 s[0:1], v1, v2
	s_add_i32 s4, s4, -1
	s_cmp_lg_u32 s4, 0
	v_addc_co_u32_e64 v1, s[0:1], 0, v1, s[0:1]
	s_waitcnt lgkmcnt(0)
	v_cmp_eq_u32_e64 s[0:1], v2, v5
	s_barrier
	s_nop 0
	v_addc_co_u32_e64 v2, s[0:1], 0, v2, s[0:1]
	s_cbranch_scc0 .LBB46_4
.LBB46_2:                               ; =>This Inner Loop Header: Depth=1
	v_mov_b32_e32 v5, 0x7b
	s_waitcnt vmcnt(1)
	ds_write_b32 v3, v1 offset:1024
	s_waitcnt lgkmcnt(0)
	s_barrier
	s_and_saveexec_b64 s[0:1], vcc
	s_cbranch_execz .LBB46_1
; %bb.3:                                ;   in Loop: Header=BB46_2 Depth=1
	ds_read_b32 v5, v4 offset:4
	s_branch .LBB46_1
.LBB46_4:
	s_add_u32 s0, s6, s2
	s_addc_u32 s1, s7, s3
	v_lshlrev_b32_e32 v0, 2, v0
	s_nop 0
	global_store_dword v0, v1, s[0:1]
	global_store_dword v0, v2, s[0:1] offset:1024
	s_endpgm
	.section	.rodata,"a",@progbits
	.p2align	6, 0x0
	.amdhsa_kernel _Z6kernelI10flag_tailsiLj256ELj2ELb1ELj100EEvPKT0_PS1_
		.amdhsa_group_segment_fixed_size 2048
		.amdhsa_private_segment_fixed_size 0
		.amdhsa_kernarg_size 16
		.amdhsa_user_sgpr_count 2
		.amdhsa_user_sgpr_dispatch_ptr 0
		.amdhsa_user_sgpr_queue_ptr 0
		.amdhsa_user_sgpr_kernarg_segment_ptr 1
		.amdhsa_user_sgpr_dispatch_id 0
		.amdhsa_user_sgpr_kernarg_preload_length 0
		.amdhsa_user_sgpr_kernarg_preload_offset 0
		.amdhsa_user_sgpr_private_segment_size 0
		.amdhsa_uses_dynamic_stack 0
		.amdhsa_enable_private_segment 0
		.amdhsa_system_sgpr_workgroup_id_x 1
		.amdhsa_system_sgpr_workgroup_id_y 0
		.amdhsa_system_sgpr_workgroup_id_z 0
		.amdhsa_system_sgpr_workgroup_info 0
		.amdhsa_system_vgpr_workitem_id 0
		.amdhsa_next_free_vgpr 6
		.amdhsa_next_free_sgpr 8
		.amdhsa_accum_offset 8
		.amdhsa_reserve_vcc 1
		.amdhsa_float_round_mode_32 0
		.amdhsa_float_round_mode_16_64 0
		.amdhsa_float_denorm_mode_32 3
		.amdhsa_float_denorm_mode_16_64 3
		.amdhsa_dx10_clamp 1
		.amdhsa_ieee_mode 1
		.amdhsa_fp16_overflow 0
		.amdhsa_tg_split 0
		.amdhsa_exception_fp_ieee_invalid_op 0
		.amdhsa_exception_fp_denorm_src 0
		.amdhsa_exception_fp_ieee_div_zero 0
		.amdhsa_exception_fp_ieee_overflow 0
		.amdhsa_exception_fp_ieee_underflow 0
		.amdhsa_exception_fp_ieee_inexact 0
		.amdhsa_exception_int_div_zero 0
	.end_amdhsa_kernel
	.section	.text._Z6kernelI10flag_tailsiLj256ELj2ELb1ELj100EEvPKT0_PS1_,"axG",@progbits,_Z6kernelI10flag_tailsiLj256ELj2ELb1ELj100EEvPKT0_PS1_,comdat
.Lfunc_end46:
	.size	_Z6kernelI10flag_tailsiLj256ELj2ELb1ELj100EEvPKT0_PS1_, .Lfunc_end46-_Z6kernelI10flag_tailsiLj256ELj2ELb1ELj100EEvPKT0_PS1_
                                        ; -- End function
	.section	.AMDGPU.csdata,"",@progbits
; Kernel info:
; codeLenInByte = 224
; NumSgprs: 14
; NumVgprs: 6
; NumAgprs: 0
; TotalNumVgprs: 6
; ScratchSize: 0
; MemoryBound: 0
; FloatMode: 240
; IeeeMode: 1
; LDSByteSize: 2048 bytes/workgroup (compile time only)
; SGPRBlocks: 1
; VGPRBlocks: 0
; NumSGPRsForWavesPerEU: 14
; NumVGPRsForWavesPerEU: 6
; AccumOffset: 8
; Occupancy: 8
; WaveLimiterHint : 1
; COMPUTE_PGM_RSRC2:SCRATCH_EN: 0
; COMPUTE_PGM_RSRC2:USER_SGPR: 2
; COMPUTE_PGM_RSRC2:TRAP_HANDLER: 0
; COMPUTE_PGM_RSRC2:TGID_X_EN: 1
; COMPUTE_PGM_RSRC2:TGID_Y_EN: 0
; COMPUTE_PGM_RSRC2:TGID_Z_EN: 0
; COMPUTE_PGM_RSRC2:TIDIG_COMP_CNT: 0
; COMPUTE_PGM_RSRC3_GFX90A:ACCUM_OFFSET: 1
; COMPUTE_PGM_RSRC3_GFX90A:TG_SPLIT: 0
	.section	.text._Z6kernelI10flag_tailsiLj256ELj3ELb1ELj100EEvPKT0_PS1_,"axG",@progbits,_Z6kernelI10flag_tailsiLj256ELj3ELb1ELj100EEvPKT0_PS1_,comdat
	.protected	_Z6kernelI10flag_tailsiLj256ELj3ELb1ELj100EEvPKT0_PS1_ ; -- Begin function _Z6kernelI10flag_tailsiLj256ELj3ELb1ELj100EEvPKT0_PS1_
	.globl	_Z6kernelI10flag_tailsiLj256ELj3ELb1ELj100EEvPKT0_PS1_
	.p2align	8
	.type	_Z6kernelI10flag_tailsiLj256ELj3ELb1ELj100EEvPKT0_PS1_,@function
_Z6kernelI10flag_tailsiLj256ELj3ELb1ELj100EEvPKT0_PS1_: ; @_Z6kernelI10flag_tailsiLj256ELj3ELb1ELj100EEvPKT0_PS1_
; %bb.0:
	s_load_dwordx4 s[4:7], s[0:1], 0x0
	s_mul_i32 s0, s2, 0x300
	s_mov_b32 s1, 0
	s_lshl_b64 s[2:3], s[0:1], 2
	v_lshlrev_b32_e32 v4, 2, v0
	s_waitcnt lgkmcnt(0)
	s_add_u32 s0, s4, s2
	s_addc_u32 s1, s5, s3
	global_load_dword v1, v4, s[0:1]
	global_load_dword v2, v4, s[0:1] offset:1024
	global_load_dword v3, v4, s[0:1] offset:2048
	s_movk_i32 s0, 0xff
	v_cmp_ne_u32_e32 vcc, s0, v0
	v_or_b32_e32 v5, 0x400, v4
	s_movk_i32 s4, 0x64
	s_branch .LBB47_2
.LBB47_1:                               ;   in Loop: Header=BB47_2 Depth=1
	s_or_b64 exec, exec, s[0:1]
	s_waitcnt vmcnt(1)
	v_cmp_eq_u32_e64 s[0:1], v1, v2
	s_add_i32 s4, s4, -1
	s_cmp_lg_u32 s4, 0
	v_addc_co_u32_e64 v1, s[0:1], 0, v1, s[0:1]
	s_waitcnt vmcnt(0)
	v_cmp_eq_u32_e64 s[0:1], v2, v3
	s_waitcnt lgkmcnt(0)
	s_barrier
	v_addc_co_u32_e64 v2, s[0:1], 0, v2, s[0:1]
	v_cmp_eq_u32_e64 s[0:1], v3, v6
	s_nop 1
	v_addc_co_u32_e64 v3, s[0:1], 0, v3, s[0:1]
	s_cbranch_scc0 .LBB47_4
.LBB47_2:                               ; =>This Inner Loop Header: Depth=1
	v_mov_b32_e32 v6, 0x7b
	s_waitcnt vmcnt(2)
	ds_write_b32 v4, v1 offset:1024
	s_waitcnt lgkmcnt(0)
	s_barrier
	s_and_saveexec_b64 s[0:1], vcc
	s_cbranch_execz .LBB47_1
; %bb.3:                                ;   in Loop: Header=BB47_2 Depth=1
	ds_read_b32 v6, v5 offset:4
	s_branch .LBB47_1
.LBB47_4:
	s_add_u32 s0, s6, s2
	s_addc_u32 s1, s7, s3
	v_lshlrev_b32_e32 v0, 2, v0
	s_nop 0
	global_store_dword v0, v1, s[0:1]
	global_store_dword v0, v2, s[0:1] offset:1024
	global_store_dword v0, v3, s[0:1] offset:2048
	s_endpgm
	.section	.rodata,"a",@progbits
	.p2align	6, 0x0
	.amdhsa_kernel _Z6kernelI10flag_tailsiLj256ELj3ELb1ELj100EEvPKT0_PS1_
		.amdhsa_group_segment_fixed_size 2048
		.amdhsa_private_segment_fixed_size 0
		.amdhsa_kernarg_size 16
		.amdhsa_user_sgpr_count 2
		.amdhsa_user_sgpr_dispatch_ptr 0
		.amdhsa_user_sgpr_queue_ptr 0
		.amdhsa_user_sgpr_kernarg_segment_ptr 1
		.amdhsa_user_sgpr_dispatch_id 0
		.amdhsa_user_sgpr_kernarg_preload_length 0
		.amdhsa_user_sgpr_kernarg_preload_offset 0
		.amdhsa_user_sgpr_private_segment_size 0
		.amdhsa_uses_dynamic_stack 0
		.amdhsa_enable_private_segment 0
		.amdhsa_system_sgpr_workgroup_id_x 1
		.amdhsa_system_sgpr_workgroup_id_y 0
		.amdhsa_system_sgpr_workgroup_id_z 0
		.amdhsa_system_sgpr_workgroup_info 0
		.amdhsa_system_vgpr_workitem_id 0
		.amdhsa_next_free_vgpr 7
		.amdhsa_next_free_sgpr 8
		.amdhsa_accum_offset 8
		.amdhsa_reserve_vcc 1
		.amdhsa_float_round_mode_32 0
		.amdhsa_float_round_mode_16_64 0
		.amdhsa_float_denorm_mode_32 3
		.amdhsa_float_denorm_mode_16_64 3
		.amdhsa_dx10_clamp 1
		.amdhsa_ieee_mode 1
		.amdhsa_fp16_overflow 0
		.amdhsa_tg_split 0
		.amdhsa_exception_fp_ieee_invalid_op 0
		.amdhsa_exception_fp_denorm_src 0
		.amdhsa_exception_fp_ieee_div_zero 0
		.amdhsa_exception_fp_ieee_overflow 0
		.amdhsa_exception_fp_ieee_underflow 0
		.amdhsa_exception_fp_ieee_inexact 0
		.amdhsa_exception_int_div_zero 0
	.end_amdhsa_kernel
	.section	.text._Z6kernelI10flag_tailsiLj256ELj3ELb1ELj100EEvPKT0_PS1_,"axG",@progbits,_Z6kernelI10flag_tailsiLj256ELj3ELb1ELj100EEvPKT0_PS1_,comdat
.Lfunc_end47:
	.size	_Z6kernelI10flag_tailsiLj256ELj3ELb1ELj100EEvPKT0_PS1_, .Lfunc_end47-_Z6kernelI10flag_tailsiLj256ELj3ELb1ELj100EEvPKT0_PS1_
                                        ; -- End function
	.section	.AMDGPU.csdata,"",@progbits
; Kernel info:
; codeLenInByte = 264
; NumSgprs: 14
; NumVgprs: 7
; NumAgprs: 0
; TotalNumVgprs: 7
; ScratchSize: 0
; MemoryBound: 0
; FloatMode: 240
; IeeeMode: 1
; LDSByteSize: 2048 bytes/workgroup (compile time only)
; SGPRBlocks: 1
; VGPRBlocks: 0
; NumSGPRsForWavesPerEU: 14
; NumVGPRsForWavesPerEU: 7
; AccumOffset: 8
; Occupancy: 8
; WaveLimiterHint : 1
; COMPUTE_PGM_RSRC2:SCRATCH_EN: 0
; COMPUTE_PGM_RSRC2:USER_SGPR: 2
; COMPUTE_PGM_RSRC2:TRAP_HANDLER: 0
; COMPUTE_PGM_RSRC2:TGID_X_EN: 1
; COMPUTE_PGM_RSRC2:TGID_Y_EN: 0
; COMPUTE_PGM_RSRC2:TGID_Z_EN: 0
; COMPUTE_PGM_RSRC2:TIDIG_COMP_CNT: 0
; COMPUTE_PGM_RSRC3_GFX90A:ACCUM_OFFSET: 1
; COMPUTE_PGM_RSRC3_GFX90A:TG_SPLIT: 0
	.section	.text._Z6kernelI10flag_tailsiLj256ELj4ELb1ELj100EEvPKT0_PS1_,"axG",@progbits,_Z6kernelI10flag_tailsiLj256ELj4ELb1ELj100EEvPKT0_PS1_,comdat
	.protected	_Z6kernelI10flag_tailsiLj256ELj4ELb1ELj100EEvPKT0_PS1_ ; -- Begin function _Z6kernelI10flag_tailsiLj256ELj4ELb1ELj100EEvPKT0_PS1_
	.globl	_Z6kernelI10flag_tailsiLj256ELj4ELb1ELj100EEvPKT0_PS1_
	.p2align	8
	.type	_Z6kernelI10flag_tailsiLj256ELj4ELb1ELj100EEvPKT0_PS1_,@function
_Z6kernelI10flag_tailsiLj256ELj4ELb1ELj100EEvPKT0_PS1_: ; @_Z6kernelI10flag_tailsiLj256ELj4ELb1ELj100EEvPKT0_PS1_
; %bb.0:
	s_load_dwordx4 s[4:7], s[0:1], 0x0
	s_lshl_b32 s0, s2, 10
	s_mov_b32 s1, 0
	s_lshl_b64 s[2:3], s[0:1], 2
	v_lshlrev_b32_e32 v5, 2, v0
	s_waitcnt lgkmcnt(0)
	s_add_u32 s0, s4, s2
	s_addc_u32 s1, s5, s3
	global_load_dword v1, v5, s[0:1]
	global_load_dword v2, v5, s[0:1] offset:1024
	global_load_dword v3, v5, s[0:1] offset:2048
	;; [unrolled: 1-line block ×3, first 2 shown]
	s_movk_i32 s0, 0xff
	v_cmp_ne_u32_e32 vcc, s0, v0
	v_or_b32_e32 v6, 0x400, v5
	s_movk_i32 s4, 0x64
	s_branch .LBB48_2
.LBB48_1:                               ;   in Loop: Header=BB48_2 Depth=1
	s_or_b64 exec, exec, s[0:1]
	s_waitcnt vmcnt(2)
	v_cmp_eq_u32_e64 s[0:1], v1, v2
	s_add_i32 s4, s4, -1
	s_cmp_lg_u32 s4, 0
	v_addc_co_u32_e64 v1, s[0:1], 0, v1, s[0:1]
	s_waitcnt vmcnt(1)
	v_cmp_eq_u32_e64 s[0:1], v2, v3
	s_waitcnt lgkmcnt(0)
	s_barrier
	v_addc_co_u32_e64 v2, s[0:1], 0, v2, s[0:1]
	s_waitcnt vmcnt(0)
	v_cmp_eq_u32_e64 s[0:1], v3, v4
	s_nop 1
	v_addc_co_u32_e64 v3, s[0:1], 0, v3, s[0:1]
	v_cmp_eq_u32_e64 s[0:1], v4, v7
	s_nop 1
	v_addc_co_u32_e64 v4, s[0:1], 0, v4, s[0:1]
	s_cbranch_scc0 .LBB48_4
.LBB48_2:                               ; =>This Inner Loop Header: Depth=1
	v_mov_b32_e32 v7, 0x7b
	s_waitcnt vmcnt(3)
	ds_write_b32 v5, v1 offset:1024
	s_waitcnt lgkmcnt(0)
	s_barrier
	s_and_saveexec_b64 s[0:1], vcc
	s_cbranch_execz .LBB48_1
; %bb.3:                                ;   in Loop: Header=BB48_2 Depth=1
	ds_read_b32 v7, v6 offset:4
	s_branch .LBB48_1
.LBB48_4:
	s_add_u32 s0, s6, s2
	s_addc_u32 s1, s7, s3
	v_lshlrev_b32_e32 v0, 2, v0
	s_nop 0
	global_store_dword v0, v1, s[0:1]
	global_store_dword v0, v2, s[0:1] offset:1024
	global_store_dword v0, v3, s[0:1] offset:2048
	;; [unrolled: 1-line block ×3, first 2 shown]
	s_endpgm
	.section	.rodata,"a",@progbits
	.p2align	6, 0x0
	.amdhsa_kernel _Z6kernelI10flag_tailsiLj256ELj4ELb1ELj100EEvPKT0_PS1_
		.amdhsa_group_segment_fixed_size 2048
		.amdhsa_private_segment_fixed_size 0
		.amdhsa_kernarg_size 16
		.amdhsa_user_sgpr_count 2
		.amdhsa_user_sgpr_dispatch_ptr 0
		.amdhsa_user_sgpr_queue_ptr 0
		.amdhsa_user_sgpr_kernarg_segment_ptr 1
		.amdhsa_user_sgpr_dispatch_id 0
		.amdhsa_user_sgpr_kernarg_preload_length 0
		.amdhsa_user_sgpr_kernarg_preload_offset 0
		.amdhsa_user_sgpr_private_segment_size 0
		.amdhsa_uses_dynamic_stack 0
		.amdhsa_enable_private_segment 0
		.amdhsa_system_sgpr_workgroup_id_x 1
		.amdhsa_system_sgpr_workgroup_id_y 0
		.amdhsa_system_sgpr_workgroup_id_z 0
		.amdhsa_system_sgpr_workgroup_info 0
		.amdhsa_system_vgpr_workitem_id 0
		.amdhsa_next_free_vgpr 8
		.amdhsa_next_free_sgpr 8
		.amdhsa_accum_offset 8
		.amdhsa_reserve_vcc 1
		.amdhsa_float_round_mode_32 0
		.amdhsa_float_round_mode_16_64 0
		.amdhsa_float_denorm_mode_32 3
		.amdhsa_float_denorm_mode_16_64 3
		.amdhsa_dx10_clamp 1
		.amdhsa_ieee_mode 1
		.amdhsa_fp16_overflow 0
		.amdhsa_tg_split 0
		.amdhsa_exception_fp_ieee_invalid_op 0
		.amdhsa_exception_fp_denorm_src 0
		.amdhsa_exception_fp_ieee_div_zero 0
		.amdhsa_exception_fp_ieee_overflow 0
		.amdhsa_exception_fp_ieee_underflow 0
		.amdhsa_exception_fp_ieee_inexact 0
		.amdhsa_exception_int_div_zero 0
	.end_amdhsa_kernel
	.section	.text._Z6kernelI10flag_tailsiLj256ELj4ELb1ELj100EEvPKT0_PS1_,"axG",@progbits,_Z6kernelI10flag_tailsiLj256ELj4ELb1ELj100EEvPKT0_PS1_,comdat
.Lfunc_end48:
	.size	_Z6kernelI10flag_tailsiLj256ELj4ELb1ELj100EEvPKT0_PS1_, .Lfunc_end48-_Z6kernelI10flag_tailsiLj256ELj4ELb1ELj100EEvPKT0_PS1_
                                        ; -- End function
	.section	.AMDGPU.csdata,"",@progbits
; Kernel info:
; codeLenInByte = 300
; NumSgprs: 14
; NumVgprs: 8
; NumAgprs: 0
; TotalNumVgprs: 8
; ScratchSize: 0
; MemoryBound: 0
; FloatMode: 240
; IeeeMode: 1
; LDSByteSize: 2048 bytes/workgroup (compile time only)
; SGPRBlocks: 1
; VGPRBlocks: 0
; NumSGPRsForWavesPerEU: 14
; NumVGPRsForWavesPerEU: 8
; AccumOffset: 8
; Occupancy: 8
; WaveLimiterHint : 1
; COMPUTE_PGM_RSRC2:SCRATCH_EN: 0
; COMPUTE_PGM_RSRC2:USER_SGPR: 2
; COMPUTE_PGM_RSRC2:TRAP_HANDLER: 0
; COMPUTE_PGM_RSRC2:TGID_X_EN: 1
; COMPUTE_PGM_RSRC2:TGID_Y_EN: 0
; COMPUTE_PGM_RSRC2:TGID_Z_EN: 0
; COMPUTE_PGM_RSRC2:TIDIG_COMP_CNT: 0
; COMPUTE_PGM_RSRC3_GFX90A:ACCUM_OFFSET: 1
; COMPUTE_PGM_RSRC3_GFX90A:TG_SPLIT: 0
	.section	.text._Z6kernelI10flag_tailsiLj256ELj8ELb1ELj100EEvPKT0_PS1_,"axG",@progbits,_Z6kernelI10flag_tailsiLj256ELj8ELb1ELj100EEvPKT0_PS1_,comdat
	.protected	_Z6kernelI10flag_tailsiLj256ELj8ELb1ELj100EEvPKT0_PS1_ ; -- Begin function _Z6kernelI10flag_tailsiLj256ELj8ELb1ELj100EEvPKT0_PS1_
	.globl	_Z6kernelI10flag_tailsiLj256ELj8ELb1ELj100EEvPKT0_PS1_
	.p2align	8
	.type	_Z6kernelI10flag_tailsiLj256ELj8ELb1ELj100EEvPKT0_PS1_,@function
_Z6kernelI10flag_tailsiLj256ELj8ELb1ELj100EEvPKT0_PS1_: ; @_Z6kernelI10flag_tailsiLj256ELj8ELb1ELj100EEvPKT0_PS1_
; %bb.0:
	s_load_dwordx4 s[4:7], s[0:1], 0x0
	s_lshl_b32 s0, s2, 11
	s_mov_b32 s1, 0
	s_lshl_b64 s[2:3], s[0:1], 2
	v_mov_b32_e32 v3, 0
	s_waitcnt lgkmcnt(0)
	s_add_u32 s0, s4, s2
	s_addc_u32 s1, s5, s3
	v_lshlrev_b32_e32 v2, 2, v0
	v_lshl_add_u64 v[6:7], s[0:1], 0, v[2:3]
	s_movk_i32 s4, 0x1000
	v_add_co_u32_e32 v10, vcc, s4, v6
	global_load_dword v1, v2, s[0:1] offset:1024
	global_load_dword v3, v2, s[0:1] offset:2048
	;; [unrolled: 1-line block ×3, first 2 shown]
	v_addc_co_u32_e32 v11, vcc, 0, v7, vcc
	global_load_dword v5, v[10:11], off
	global_load_dword v6, v[10:11], off offset:1024
	global_load_dword v7, v[10:11], off offset:2048
	global_load_dword v9, v2, s[0:1]
	global_load_dword v8, v[10:11], off offset:3072
	s_movk_i32 s0, 0xff
	v_cmp_ne_u32_e32 vcc, s0, v0
	v_or_b32_e32 v10, 0x400, v2
	s_movk_i32 s4, 0x64
	s_branch .LBB49_2
.LBB49_1:                               ;   in Loop: Header=BB49_2 Depth=1
	s_or_b64 exec, exec, s[0:1]
	v_cmp_eq_u32_e64 s[0:1], v9, v1
	s_add_i32 s4, s4, -1
	s_cmp_lg_u32 s4, 0
	v_addc_co_u32_e64 v9, s[0:1], 0, v9, s[0:1]
	v_cmp_eq_u32_e64 s[0:1], v1, v3
	s_waitcnt lgkmcnt(0)
	s_barrier
	v_addc_co_u32_e64 v1, s[0:1], 0, v1, s[0:1]
	v_cmp_eq_u32_e64 s[0:1], v3, v4
	s_nop 1
	v_addc_co_u32_e64 v3, s[0:1], 0, v3, s[0:1]
	v_cmp_eq_u32_e64 s[0:1], v4, v5
	s_nop 1
	;; [unrolled: 3-line block ×4, first 2 shown]
	v_addc_co_u32_e64 v6, s[0:1], 0, v6, s[0:1]
	s_waitcnt vmcnt(0)
	v_cmp_eq_u32_e64 s[0:1], v7, v8
	s_nop 1
	v_addc_co_u32_e64 v7, s[0:1], 0, v7, s[0:1]
	v_cmp_eq_u32_e64 s[0:1], v8, v11
	s_nop 1
	v_addc_co_u32_e64 v8, s[0:1], 0, v8, s[0:1]
	s_cbranch_scc0 .LBB49_4
.LBB49_2:                               ; =>This Inner Loop Header: Depth=1
	v_mov_b32_e32 v11, 0x7b
	s_waitcnt vmcnt(1)
	ds_write_b32 v2, v9 offset:1024
	s_waitcnt lgkmcnt(0)
	s_barrier
	s_and_saveexec_b64 s[0:1], vcc
	s_cbranch_execz .LBB49_1
; %bb.3:                                ;   in Loop: Header=BB49_2 Depth=1
	ds_read_b32 v11, v10 offset:4
	s_branch .LBB49_1
.LBB49_4:
	s_add_u32 s0, s6, s2
	s_addc_u32 s1, s7, s3
	v_lshlrev_b32_e32 v10, 2, v0
	v_mov_b32_e32 v11, 0
	v_lshl_add_u64 v[12:13], s[0:1], 0, v[10:11]
	v_add_co_u32_e32 v0, vcc, 0x1000, v12
	global_store_dword v10, v9, s[0:1]
	global_store_dword v10, v1, s[0:1] offset:1024
	global_store_dword v10, v3, s[0:1] offset:2048
	;; [unrolled: 1-line block ×3, first 2 shown]
	v_addc_co_u32_e32 v1, vcc, 0, v13, vcc
	global_store_dword v[0:1], v5, off
	global_store_dword v[0:1], v6, off offset:1024
	global_store_dword v[0:1], v7, off offset:2048
	;; [unrolled: 1-line block ×3, first 2 shown]
	s_endpgm
	.section	.rodata,"a",@progbits
	.p2align	6, 0x0
	.amdhsa_kernel _Z6kernelI10flag_tailsiLj256ELj8ELb1ELj100EEvPKT0_PS1_
		.amdhsa_group_segment_fixed_size 2048
		.amdhsa_private_segment_fixed_size 0
		.amdhsa_kernarg_size 16
		.amdhsa_user_sgpr_count 2
		.amdhsa_user_sgpr_dispatch_ptr 0
		.amdhsa_user_sgpr_queue_ptr 0
		.amdhsa_user_sgpr_kernarg_segment_ptr 1
		.amdhsa_user_sgpr_dispatch_id 0
		.amdhsa_user_sgpr_kernarg_preload_length 0
		.amdhsa_user_sgpr_kernarg_preload_offset 0
		.amdhsa_user_sgpr_private_segment_size 0
		.amdhsa_uses_dynamic_stack 0
		.amdhsa_enable_private_segment 0
		.amdhsa_system_sgpr_workgroup_id_x 1
		.amdhsa_system_sgpr_workgroup_id_y 0
		.amdhsa_system_sgpr_workgroup_id_z 0
		.amdhsa_system_sgpr_workgroup_info 0
		.amdhsa_system_vgpr_workitem_id 0
		.amdhsa_next_free_vgpr 14
		.amdhsa_next_free_sgpr 8
		.amdhsa_accum_offset 16
		.amdhsa_reserve_vcc 1
		.amdhsa_float_round_mode_32 0
		.amdhsa_float_round_mode_16_64 0
		.amdhsa_float_denorm_mode_32 3
		.amdhsa_float_denorm_mode_16_64 3
		.amdhsa_dx10_clamp 1
		.amdhsa_ieee_mode 1
		.amdhsa_fp16_overflow 0
		.amdhsa_tg_split 0
		.amdhsa_exception_fp_ieee_invalid_op 0
		.amdhsa_exception_fp_denorm_src 0
		.amdhsa_exception_fp_ieee_div_zero 0
		.amdhsa_exception_fp_ieee_overflow 0
		.amdhsa_exception_fp_ieee_underflow 0
		.amdhsa_exception_fp_ieee_inexact 0
		.amdhsa_exception_int_div_zero 0
	.end_amdhsa_kernel
	.section	.text._Z6kernelI10flag_tailsiLj256ELj8ELb1ELj100EEvPKT0_PS1_,"axG",@progbits,_Z6kernelI10flag_tailsiLj256ELj8ELb1ELj100EEvPKT0_PS1_,comdat
.Lfunc_end49:
	.size	_Z6kernelI10flag_tailsiLj256ELj8ELb1ELj100EEvPKT0_PS1_, .Lfunc_end49-_Z6kernelI10flag_tailsiLj256ELj8ELb1ELj100EEvPKT0_PS1_
                                        ; -- End function
	.section	.AMDGPU.csdata,"",@progbits
; Kernel info:
; codeLenInByte = 480
; NumSgprs: 14
; NumVgprs: 14
; NumAgprs: 0
; TotalNumVgprs: 14
; ScratchSize: 0
; MemoryBound: 0
; FloatMode: 240
; IeeeMode: 1
; LDSByteSize: 2048 bytes/workgroup (compile time only)
; SGPRBlocks: 1
; VGPRBlocks: 1
; NumSGPRsForWavesPerEU: 14
; NumVGPRsForWavesPerEU: 14
; AccumOffset: 16
; Occupancy: 8
; WaveLimiterHint : 1
; COMPUTE_PGM_RSRC2:SCRATCH_EN: 0
; COMPUTE_PGM_RSRC2:USER_SGPR: 2
; COMPUTE_PGM_RSRC2:TRAP_HANDLER: 0
; COMPUTE_PGM_RSRC2:TGID_X_EN: 1
; COMPUTE_PGM_RSRC2:TGID_Y_EN: 0
; COMPUTE_PGM_RSRC2:TGID_Z_EN: 0
; COMPUTE_PGM_RSRC2:TIDIG_COMP_CNT: 0
; COMPUTE_PGM_RSRC3_GFX90A:ACCUM_OFFSET: 3
; COMPUTE_PGM_RSRC3_GFX90A:TG_SPLIT: 0
	.section	.text._Z6kernelI10flag_tailsaLj256ELj1ELb0ELj100EEvPKT0_PS1_,"axG",@progbits,_Z6kernelI10flag_tailsaLj256ELj1ELb0ELj100EEvPKT0_PS1_,comdat
	.protected	_Z6kernelI10flag_tailsaLj256ELj1ELb0ELj100EEvPKT0_PS1_ ; -- Begin function _Z6kernelI10flag_tailsaLj256ELj1ELb0ELj100EEvPKT0_PS1_
	.globl	_Z6kernelI10flag_tailsaLj256ELj1ELb0ELj100EEvPKT0_PS1_
	.p2align	8
	.type	_Z6kernelI10flag_tailsaLj256ELj1ELb0ELj100EEvPKT0_PS1_,@function
_Z6kernelI10flag_tailsaLj256ELj1ELb0ELj100EEvPKT0_PS1_: ; @_Z6kernelI10flag_tailsaLj256ELj1ELb0ELj100EEvPKT0_PS1_
; %bb.0:
	s_load_dwordx4 s[4:7], s[0:1], 0x0
	s_lshl_b32 s2, s2, 8
	v_mov_b32_e32 v1, 0
	s_movk_i32 s3, 0x64
	s_waitcnt lgkmcnt(0)
	s_add_u32 s0, s4, s2
	s_addc_u32 s1, s5, 0
	global_load_ubyte v2, v0, s[0:1]
	s_movk_i32 s0, 0xff
	v_cmp_ne_u32_e32 vcc, s0, v0
	s_branch .LBB50_2
.LBB50_1:                               ;   in Loop: Header=BB50_2 Depth=1
	s_or_b64 exec, exec, s[0:1]
	s_add_i32 s3, s3, -1
	v_add_u16_e32 v2, v3, v2
	s_cmp_lg_u32 s3, 0
	s_barrier
	s_cbranch_scc0 .LBB50_4
.LBB50_2:                               ; =>This Inner Loop Header: Depth=1
	v_mov_b32_e32 v3, 1
	s_waitcnt vmcnt(0)
	ds_write_b8 v0, v2 offset:256
	s_waitcnt lgkmcnt(0)
	s_barrier
	s_and_saveexec_b64 s[0:1], vcc
	s_cbranch_execz .LBB50_1
; %bb.3:                                ;   in Loop: Header=BB50_2 Depth=1
	ds_read_u8 v3, v0 offset:257
	s_waitcnt lgkmcnt(0)
	v_cmp_eq_u16_sdwa s[4:5], v2, v3 src0_sel:BYTE_0 src1_sel:DWORD
	s_nop 1
	v_cndmask_b32_e64 v3, 0, 1, s[4:5]
	s_branch .LBB50_1
.LBB50_4:
	s_add_u32 s0, s6, s2
	s_addc_u32 s1, s7, 0
	v_lshl_add_u64 v[0:1], s[0:1], 0, v[0:1]
	global_store_byte v[0:1], v2, off
	s_endpgm
	.section	.rodata,"a",@progbits
	.p2align	6, 0x0
	.amdhsa_kernel _Z6kernelI10flag_tailsaLj256ELj1ELb0ELj100EEvPKT0_PS1_
		.amdhsa_group_segment_fixed_size 512
		.amdhsa_private_segment_fixed_size 0
		.amdhsa_kernarg_size 16
		.amdhsa_user_sgpr_count 2
		.amdhsa_user_sgpr_dispatch_ptr 0
		.amdhsa_user_sgpr_queue_ptr 0
		.amdhsa_user_sgpr_kernarg_segment_ptr 1
		.amdhsa_user_sgpr_dispatch_id 0
		.amdhsa_user_sgpr_kernarg_preload_length 0
		.amdhsa_user_sgpr_kernarg_preload_offset 0
		.amdhsa_user_sgpr_private_segment_size 0
		.amdhsa_uses_dynamic_stack 0
		.amdhsa_enable_private_segment 0
		.amdhsa_system_sgpr_workgroup_id_x 1
		.amdhsa_system_sgpr_workgroup_id_y 0
		.amdhsa_system_sgpr_workgroup_id_z 0
		.amdhsa_system_sgpr_workgroup_info 0
		.amdhsa_system_vgpr_workitem_id 0
		.amdhsa_next_free_vgpr 4
		.amdhsa_next_free_sgpr 8
		.amdhsa_accum_offset 4
		.amdhsa_reserve_vcc 1
		.amdhsa_float_round_mode_32 0
		.amdhsa_float_round_mode_16_64 0
		.amdhsa_float_denorm_mode_32 3
		.amdhsa_float_denorm_mode_16_64 3
		.amdhsa_dx10_clamp 1
		.amdhsa_ieee_mode 1
		.amdhsa_fp16_overflow 0
		.amdhsa_tg_split 0
		.amdhsa_exception_fp_ieee_invalid_op 0
		.amdhsa_exception_fp_denorm_src 0
		.amdhsa_exception_fp_ieee_div_zero 0
		.amdhsa_exception_fp_ieee_overflow 0
		.amdhsa_exception_fp_ieee_underflow 0
		.amdhsa_exception_fp_ieee_inexact 0
		.amdhsa_exception_int_div_zero 0
	.end_amdhsa_kernel
	.section	.text._Z6kernelI10flag_tailsaLj256ELj1ELb0ELj100EEvPKT0_PS1_,"axG",@progbits,_Z6kernelI10flag_tailsaLj256ELj1ELb0ELj100EEvPKT0_PS1_,comdat
.Lfunc_end50:
	.size	_Z6kernelI10flag_tailsaLj256ELj1ELb0ELj100EEvPKT0_PS1_, .Lfunc_end50-_Z6kernelI10flag_tailsaLj256ELj1ELb0ELj100EEvPKT0_PS1_
                                        ; -- End function
	.section	.AMDGPU.csdata,"",@progbits
; Kernel info:
; codeLenInByte = 172
; NumSgprs: 14
; NumVgprs: 4
; NumAgprs: 0
; TotalNumVgprs: 4
; ScratchSize: 0
; MemoryBound: 0
; FloatMode: 240
; IeeeMode: 1
; LDSByteSize: 512 bytes/workgroup (compile time only)
; SGPRBlocks: 1
; VGPRBlocks: 0
; NumSGPRsForWavesPerEU: 14
; NumVGPRsForWavesPerEU: 4
; AccumOffset: 4
; Occupancy: 8
; WaveLimiterHint : 0
; COMPUTE_PGM_RSRC2:SCRATCH_EN: 0
; COMPUTE_PGM_RSRC2:USER_SGPR: 2
; COMPUTE_PGM_RSRC2:TRAP_HANDLER: 0
; COMPUTE_PGM_RSRC2:TGID_X_EN: 1
; COMPUTE_PGM_RSRC2:TGID_Y_EN: 0
; COMPUTE_PGM_RSRC2:TGID_Z_EN: 0
; COMPUTE_PGM_RSRC2:TIDIG_COMP_CNT: 0
; COMPUTE_PGM_RSRC3_GFX90A:ACCUM_OFFSET: 0
; COMPUTE_PGM_RSRC3_GFX90A:TG_SPLIT: 0
	.section	.text._Z6kernelI10flag_tailsaLj256ELj2ELb0ELj100EEvPKT0_PS1_,"axG",@progbits,_Z6kernelI10flag_tailsaLj256ELj2ELb0ELj100EEvPKT0_PS1_,comdat
	.protected	_Z6kernelI10flag_tailsaLj256ELj2ELb0ELj100EEvPKT0_PS1_ ; -- Begin function _Z6kernelI10flag_tailsaLj256ELj2ELb0ELj100EEvPKT0_PS1_
	.globl	_Z6kernelI10flag_tailsaLj256ELj2ELb0ELj100EEvPKT0_PS1_
	.p2align	8
	.type	_Z6kernelI10flag_tailsaLj256ELj2ELb0ELj100EEvPKT0_PS1_,@function
_Z6kernelI10flag_tailsaLj256ELj2ELb0ELj100EEvPKT0_PS1_: ; @_Z6kernelI10flag_tailsaLj256ELj2ELb0ELj100EEvPKT0_PS1_
; %bb.0:
	s_load_dwordx4 s[4:7], s[0:1], 0x0
	s_lshl_b32 s2, s2, 9
	v_mov_b32_e32 v1, 0
	s_movk_i32 s3, 0x64
	s_waitcnt lgkmcnt(0)
	s_add_u32 s0, s4, s2
	s_addc_u32 s1, s5, 0
	global_load_ubyte v2, v0, s[0:1] offset:256
	global_load_ubyte v3, v0, s[0:1]
	s_movk_i32 s0, 0xff
	v_cmp_ne_u32_e32 vcc, s0, v0
	s_waitcnt vmcnt(1)
	v_lshlrev_b16_e32 v2, 8, v2
	s_waitcnt vmcnt(0)
	v_or_b32_e32 v2, v3, v2
	v_and_b32_e32 v2, 0xffff, v2
	s_branch .LBB51_2
.LBB51_1:                               ;   in Loop: Header=BB51_2 Depth=1
	s_or_b64 exec, exec, s[0:1]
	v_add_u16_e32 v3, v4, v2
	v_lshrrev_b16_e32 v4, 8, v4
	v_add_u16_sdwa v4, v4, v2 dst_sel:DWORD dst_unused:UNUSED_PAD src0_sel:DWORD src1_sel:BYTE_1
	v_lshlrev_b16_e32 v2, 8, v4
	v_or_b32_sdwa v2, v3, v2 dst_sel:DWORD dst_unused:UNUSED_PAD src0_sel:BYTE_0 src1_sel:DWORD
	s_add_i32 s3, s3, -1
	v_and_b32_e32 v2, 0xffff, v2
	s_cmp_lg_u32 s3, 0
	s_barrier
	s_cbranch_scc0 .LBB51_4
.LBB51_2:                               ; =>This Inner Loop Header: Depth=1
	v_cmp_eq_u16_sdwa s[0:1], v2, v2 src0_sel:BYTE_0 src1_sel:BYTE_1
	ds_write_b8 v0, v2 offset:256
	s_waitcnt lgkmcnt(0)
	v_cndmask_b32_e64 v3, 0, 1, s[0:1]
	v_or_b32_e32 v3, 0x100, v3
	v_and_b32_e32 v4, 0xffff, v3
	s_barrier
	s_and_saveexec_b64 s[0:1], vcc
	s_cbranch_execz .LBB51_1
; %bb.3:                                ;   in Loop: Header=BB51_2 Depth=1
	ds_read_u8 v3, v0 offset:257
	s_waitcnt lgkmcnt(0)
	v_cmp_eq_u16_sdwa s[4:5], v2, v3 src0_sel:BYTE_1 src1_sel:DWORD
	s_nop 1
	v_cndmask_b32_e64 v3, 0, 1, s[4:5]
	v_lshlrev_b16_e32 v3, 8, v3
	v_or_b32_sdwa v3, v4, v3 dst_sel:DWORD dst_unused:UNUSED_PAD src0_sel:BYTE_0 src1_sel:DWORD
	v_and_b32_e32 v4, 0xffff, v3
	s_branch .LBB51_1
.LBB51_4:
	s_add_u32 s0, s6, s2
	s_addc_u32 s1, s7, 0
	v_lshl_add_u64 v[0:1], s[0:1], 0, v[0:1]
	global_store_byte v[0:1], v3, off
	global_store_byte v[0:1], v4, off offset:256
	s_endpgm
	.section	.rodata,"a",@progbits
	.p2align	6, 0x0
	.amdhsa_kernel _Z6kernelI10flag_tailsaLj256ELj2ELb0ELj100EEvPKT0_PS1_
		.amdhsa_group_segment_fixed_size 512
		.amdhsa_private_segment_fixed_size 0
		.amdhsa_kernarg_size 16
		.amdhsa_user_sgpr_count 2
		.amdhsa_user_sgpr_dispatch_ptr 0
		.amdhsa_user_sgpr_queue_ptr 0
		.amdhsa_user_sgpr_kernarg_segment_ptr 1
		.amdhsa_user_sgpr_dispatch_id 0
		.amdhsa_user_sgpr_kernarg_preload_length 0
		.amdhsa_user_sgpr_kernarg_preload_offset 0
		.amdhsa_user_sgpr_private_segment_size 0
		.amdhsa_uses_dynamic_stack 0
		.amdhsa_enable_private_segment 0
		.amdhsa_system_sgpr_workgroup_id_x 1
		.amdhsa_system_sgpr_workgroup_id_y 0
		.amdhsa_system_sgpr_workgroup_id_z 0
		.amdhsa_system_sgpr_workgroup_info 0
		.amdhsa_system_vgpr_workitem_id 0
		.amdhsa_next_free_vgpr 5
		.amdhsa_next_free_sgpr 8
		.amdhsa_accum_offset 8
		.amdhsa_reserve_vcc 1
		.amdhsa_float_round_mode_32 0
		.amdhsa_float_round_mode_16_64 0
		.amdhsa_float_denorm_mode_32 3
		.amdhsa_float_denorm_mode_16_64 3
		.amdhsa_dx10_clamp 1
		.amdhsa_ieee_mode 1
		.amdhsa_fp16_overflow 0
		.amdhsa_tg_split 0
		.amdhsa_exception_fp_ieee_invalid_op 0
		.amdhsa_exception_fp_denorm_src 0
		.amdhsa_exception_fp_ieee_div_zero 0
		.amdhsa_exception_fp_ieee_overflow 0
		.amdhsa_exception_fp_ieee_underflow 0
		.amdhsa_exception_fp_ieee_inexact 0
		.amdhsa_exception_int_div_zero 0
	.end_amdhsa_kernel
	.section	.text._Z6kernelI10flag_tailsaLj256ELj2ELb0ELj100EEvPKT0_PS1_,"axG",@progbits,_Z6kernelI10flag_tailsaLj256ELj2ELb0ELj100EEvPKT0_PS1_,comdat
.Lfunc_end51:
	.size	_Z6kernelI10flag_tailsaLj256ELj2ELb0ELj100EEvPKT0_PS1_, .Lfunc_end51-_Z6kernelI10flag_tailsaLj256ELj2ELb0ELj100EEvPKT0_PS1_
                                        ; -- End function
	.section	.AMDGPU.csdata,"",@progbits
; Kernel info:
; codeLenInByte = 288
; NumSgprs: 14
; NumVgprs: 5
; NumAgprs: 0
; TotalNumVgprs: 5
; ScratchSize: 0
; MemoryBound: 0
; FloatMode: 240
; IeeeMode: 1
; LDSByteSize: 512 bytes/workgroup (compile time only)
; SGPRBlocks: 1
; VGPRBlocks: 0
; NumSGPRsForWavesPerEU: 14
; NumVGPRsForWavesPerEU: 5
; AccumOffset: 8
; Occupancy: 8
; WaveLimiterHint : 1
; COMPUTE_PGM_RSRC2:SCRATCH_EN: 0
; COMPUTE_PGM_RSRC2:USER_SGPR: 2
; COMPUTE_PGM_RSRC2:TRAP_HANDLER: 0
; COMPUTE_PGM_RSRC2:TGID_X_EN: 1
; COMPUTE_PGM_RSRC2:TGID_Y_EN: 0
; COMPUTE_PGM_RSRC2:TGID_Z_EN: 0
; COMPUTE_PGM_RSRC2:TIDIG_COMP_CNT: 0
; COMPUTE_PGM_RSRC3_GFX90A:ACCUM_OFFSET: 1
; COMPUTE_PGM_RSRC3_GFX90A:TG_SPLIT: 0
	.section	.text._Z6kernelI10flag_tailsaLj256ELj3ELb0ELj100EEvPKT0_PS1_,"axG",@progbits,_Z6kernelI10flag_tailsaLj256ELj3ELb0ELj100EEvPKT0_PS1_,comdat
	.protected	_Z6kernelI10flag_tailsaLj256ELj3ELb0ELj100EEvPKT0_PS1_ ; -- Begin function _Z6kernelI10flag_tailsaLj256ELj3ELb0ELj100EEvPKT0_PS1_
	.globl	_Z6kernelI10flag_tailsaLj256ELj3ELb0ELj100EEvPKT0_PS1_
	.p2align	8
	.type	_Z6kernelI10flag_tailsaLj256ELj3ELb0ELj100EEvPKT0_PS1_,@function
_Z6kernelI10flag_tailsaLj256ELj3ELb0ELj100EEvPKT0_PS1_: ; @_Z6kernelI10flag_tailsaLj256ELj3ELb0ELj100EEvPKT0_PS1_
; %bb.0:
	s_load_dwordx4 s[4:7], s[0:1], 0x0
	s_mul_i32 s8, s2, 0x300
	v_mov_b32_e32 v1, 0
	s_mov_b32 s9, 0x10000
	s_waitcnt lgkmcnt(0)
	s_add_u32 s0, s4, s8
	s_addc_u32 s1, s5, 0
	global_load_ubyte v2, v0, s[0:1] offset:256
	global_load_ubyte v3, v0, s[0:1]
	global_load_ubyte v4, v0, s[0:1] offset:512
	s_movk_i32 s4, 0xff
	s_movk_i32 s5, 0x64
	v_cmp_ne_u32_e32 vcc, s4, v0
	s_waitcnt vmcnt(2)
	v_lshlrev_b16_e32 v2, 8, v2
	s_waitcnt vmcnt(1)
	v_or_b32_e32 v2, v3, v2
	v_and_b32_e32 v2, 0xffff, v2
	s_waitcnt vmcnt(0)
	v_lshl_or_b32 v3, v4, 16, v2
	v_mov_b32_e32 v2, 8
	s_branch .LBB52_2
.LBB52_1:                               ;   in Loop: Header=BB52_2 Depth=1
	s_or_b64 exec, exec, s[2:3]
	v_lshrrev_b32_e32 v7, 16, v6
	v_add_u16_e32 v5, v6, v3
	v_lshrrev_b32_e32 v6, 8, v6
	v_add_u16_e32 v4, v6, v4
	v_add_u16_sdwa v6, v7, v3 dst_sel:DWORD dst_unused:UNUSED_PAD src0_sel:DWORD src1_sel:WORD_1
	v_lshlrev_b16_e32 v3, 8, v4
	v_and_b32_e32 v7, 0xff, v6
	v_or_b32_sdwa v3, v5, v3 dst_sel:DWORD dst_unused:UNUSED_PAD src0_sel:BYTE_0 src1_sel:DWORD
	v_lshlrev_b32_e32 v7, 16, v7
	s_add_i32 s5, s5, -1
	v_or_b32_sdwa v3, v3, v7 dst_sel:DWORD dst_unused:UNUSED_PAD src0_sel:WORD_0 src1_sel:DWORD
	s_cmp_lg_u32 s5, 0
	s_barrier
	s_cbranch_scc0 .LBB52_4
.LBB52_2:                               ; =>This Inner Loop Header: Depth=1
	v_lshrrev_b32_e32 v4, 8, v3
	v_cmp_eq_u16_sdwa s[0:1], v3, v4 src0_sel:BYTE_0 src1_sel:BYTE_0
	v_and_b32_sdwa v5, v3, s4 dst_sel:DWORD dst_unused:UNUSED_PAD src0_sel:WORD_1 src1_sel:DWORD
	ds_write_b8 v0, v3 offset:256
	v_cndmask_b32_e64 v6, 0, 1, s[0:1]
	v_cmp_eq_u16_sdwa s[0:1], v4, v5 src0_sel:BYTE_0 src1_sel:DWORD
	s_waitcnt lgkmcnt(0)
	s_barrier
	v_cndmask_b32_e64 v7, 0, 1, s[0:1]
	v_lshlrev_b16_e32 v7, 8, v7
	v_or_b32_e32 v6, v6, v7
	v_or_b32_sdwa v6, v6, s9 dst_sel:DWORD dst_unused:UNUSED_PAD src0_sel:WORD_0 src1_sel:DWORD
	s_and_saveexec_b64 s[2:3], vcc
	s_cbranch_execz .LBB52_1
; %bb.3:                                ;   in Loop: Header=BB52_2 Depth=1
	ds_read_u8 v7, v0 offset:257
	v_lshrrev_b32_sdwa v8, v2, v6 dst_sel:BYTE_1 dst_unused:UNUSED_PAD src0_sel:DWORD src1_sel:DWORD
	s_waitcnt lgkmcnt(0)
	v_cmp_eq_u16_e64 s[0:1], v5, v7
	v_or_b32_sdwa v6, v6, v8 dst_sel:DWORD dst_unused:UNUSED_PAD src0_sel:BYTE_0 src1_sel:DWORD
	v_and_b32_e32 v6, 0xffff, v6
	v_cndmask_b32_e64 v5, 0, 1, s[0:1]
	v_lshl_or_b32 v6, v5, 16, v6
	s_branch .LBB52_1
.LBB52_4:
	s_add_u32 s0, s6, s8
	s_addc_u32 s1, s7, 0
	v_lshl_add_u64 v[0:1], s[0:1], 0, v[0:1]
	global_store_byte v[0:1], v5, off
	global_store_byte v[0:1], v4, off offset:256
	global_store_byte v[0:1], v6, off offset:512
	s_endpgm
	.section	.rodata,"a",@progbits
	.p2align	6, 0x0
	.amdhsa_kernel _Z6kernelI10flag_tailsaLj256ELj3ELb0ELj100EEvPKT0_PS1_
		.amdhsa_group_segment_fixed_size 512
		.amdhsa_private_segment_fixed_size 0
		.amdhsa_kernarg_size 16
		.amdhsa_user_sgpr_count 2
		.amdhsa_user_sgpr_dispatch_ptr 0
		.amdhsa_user_sgpr_queue_ptr 0
		.amdhsa_user_sgpr_kernarg_segment_ptr 1
		.amdhsa_user_sgpr_dispatch_id 0
		.amdhsa_user_sgpr_kernarg_preload_length 0
		.amdhsa_user_sgpr_kernarg_preload_offset 0
		.amdhsa_user_sgpr_private_segment_size 0
		.amdhsa_uses_dynamic_stack 0
		.amdhsa_enable_private_segment 0
		.amdhsa_system_sgpr_workgroup_id_x 1
		.amdhsa_system_sgpr_workgroup_id_y 0
		.amdhsa_system_sgpr_workgroup_id_z 0
		.amdhsa_system_sgpr_workgroup_info 0
		.amdhsa_system_vgpr_workitem_id 0
		.amdhsa_next_free_vgpr 9
		.amdhsa_next_free_sgpr 10
		.amdhsa_accum_offset 12
		.amdhsa_reserve_vcc 1
		.amdhsa_float_round_mode_32 0
		.amdhsa_float_round_mode_16_64 0
		.amdhsa_float_denorm_mode_32 3
		.amdhsa_float_denorm_mode_16_64 3
		.amdhsa_dx10_clamp 1
		.amdhsa_ieee_mode 1
		.amdhsa_fp16_overflow 0
		.amdhsa_tg_split 0
		.amdhsa_exception_fp_ieee_invalid_op 0
		.amdhsa_exception_fp_denorm_src 0
		.amdhsa_exception_fp_ieee_div_zero 0
		.amdhsa_exception_fp_ieee_overflow 0
		.amdhsa_exception_fp_ieee_underflow 0
		.amdhsa_exception_fp_ieee_inexact 0
		.amdhsa_exception_int_div_zero 0
	.end_amdhsa_kernel
	.section	.text._Z6kernelI10flag_tailsaLj256ELj3ELb0ELj100EEvPKT0_PS1_,"axG",@progbits,_Z6kernelI10flag_tailsaLj256ELj3ELb0ELj100EEvPKT0_PS1_,comdat
.Lfunc_end52:
	.size	_Z6kernelI10flag_tailsaLj256ELj3ELb0ELj100EEvPKT0_PS1_, .Lfunc_end52-_Z6kernelI10flag_tailsaLj256ELj3ELb0ELj100EEvPKT0_PS1_
                                        ; -- End function
	.section	.AMDGPU.csdata,"",@progbits
; Kernel info:
; codeLenInByte = 388
; NumSgprs: 16
; NumVgprs: 9
; NumAgprs: 0
; TotalNumVgprs: 9
; ScratchSize: 0
; MemoryBound: 0
; FloatMode: 240
; IeeeMode: 1
; LDSByteSize: 512 bytes/workgroup (compile time only)
; SGPRBlocks: 1
; VGPRBlocks: 1
; NumSGPRsForWavesPerEU: 16
; NumVGPRsForWavesPerEU: 9
; AccumOffset: 12
; Occupancy: 8
; WaveLimiterHint : 1
; COMPUTE_PGM_RSRC2:SCRATCH_EN: 0
; COMPUTE_PGM_RSRC2:USER_SGPR: 2
; COMPUTE_PGM_RSRC2:TRAP_HANDLER: 0
; COMPUTE_PGM_RSRC2:TGID_X_EN: 1
; COMPUTE_PGM_RSRC2:TGID_Y_EN: 0
; COMPUTE_PGM_RSRC2:TGID_Z_EN: 0
; COMPUTE_PGM_RSRC2:TIDIG_COMP_CNT: 0
; COMPUTE_PGM_RSRC3_GFX90A:ACCUM_OFFSET: 2
; COMPUTE_PGM_RSRC3_GFX90A:TG_SPLIT: 0
	.section	.text._Z6kernelI10flag_tailsaLj256ELj4ELb0ELj100EEvPKT0_PS1_,"axG",@progbits,_Z6kernelI10flag_tailsaLj256ELj4ELb0ELj100EEvPKT0_PS1_,comdat
	.protected	_Z6kernelI10flag_tailsaLj256ELj4ELb0ELj100EEvPKT0_PS1_ ; -- Begin function _Z6kernelI10flag_tailsaLj256ELj4ELb0ELj100EEvPKT0_PS1_
	.globl	_Z6kernelI10flag_tailsaLj256ELj4ELb0ELj100EEvPKT0_PS1_
	.p2align	8
	.type	_Z6kernelI10flag_tailsaLj256ELj4ELb0ELj100EEvPKT0_PS1_,@function
_Z6kernelI10flag_tailsaLj256ELj4ELb0ELj100EEvPKT0_PS1_: ; @_Z6kernelI10flag_tailsaLj256ELj4ELb0ELj100EEvPKT0_PS1_
; %bb.0:
	s_load_dwordx4 s[4:7], s[0:1], 0x0
	s_lshl_b32 s2, s2, 10
	v_mov_b32_e32 v1, 0
	s_mov_b32 s3, 0xffff
	s_movk_i32 s8, 0x100
	s_waitcnt lgkmcnt(0)
	s_add_u32 s0, s4, s2
	s_addc_u32 s1, s5, 0
	global_load_ubyte v2, v0, s[0:1] offset:256
	global_load_ubyte v3, v0, s[0:1] offset:768
	global_load_ubyte v4, v0, s[0:1]
	global_load_ubyte v5, v0, s[0:1] offset:512
	s_movk_i32 s4, 0xff
	s_movk_i32 s5, 0x64
	v_cmp_ne_u32_e32 vcc, s4, v0
	s_waitcnt vmcnt(3)
	v_lshlrev_b16_e32 v2, 8, v2
	s_waitcnt vmcnt(2)
	v_lshlrev_b16_e32 v3, 8, v3
	s_waitcnt vmcnt(1)
	v_or_b32_e32 v2, v4, v2
	s_waitcnt vmcnt(0)
	v_or_b32_sdwa v3, v5, v3 dst_sel:WORD_1 dst_unused:UNUSED_PAD src0_sel:DWORD src1_sel:DWORD
	s_nop 0
	v_or_b32_sdwa v2, v2, v3 dst_sel:DWORD dst_unused:UNUSED_PAD src0_sel:WORD_0 src1_sel:DWORD
	s_branch .LBB53_2
.LBB53_1:                               ;   in Loop: Header=BB53_2 Depth=1
	s_or_b64 exec, exec, s[0:1]
	v_lshrrev_b32_e32 v5, 16, v6
	v_add_u16_e32 v4, v6, v2
	v_lshrrev_b32_e32 v7, 8, v6
	v_lshrrev_b32_e32 v6, 24, v6
	v_add_u16_e32 v3, v7, v3
	v_add_u16_sdwa v6, v6, v2 dst_sel:DWORD dst_unused:UNUSED_PAD src0_sel:DWORD src1_sel:BYTE_3
	v_add_u16_sdwa v5, v5, v2 dst_sel:DWORD dst_unused:UNUSED_PAD src0_sel:DWORD src1_sel:WORD_1
	v_lshlrev_b16_e32 v2, 8, v3
	v_lshlrev_b16_e32 v7, 8, v6
	v_or_b32_sdwa v2, v4, v2 dst_sel:DWORD dst_unused:UNUSED_PAD src0_sel:BYTE_0 src1_sel:DWORD
	v_or_b32_sdwa v7, v5, v7 dst_sel:WORD_1 dst_unused:UNUSED_PAD src0_sel:BYTE_0 src1_sel:DWORD
	s_add_i32 s5, s5, -1
	v_or_b32_sdwa v2, v2, v7 dst_sel:DWORD dst_unused:UNUSED_PAD src0_sel:WORD_0 src1_sel:DWORD
	s_cmp_lg_u32 s5, 0
	s_barrier
	s_cbranch_scc0 .LBB53_4
.LBB53_2:                               ; =>This Inner Loop Header: Depth=1
	v_lshrrev_b32_e32 v3, 8, v2
	v_cmp_eq_u16_sdwa s[0:1], v2, v3 src0_sel:BYTE_0 src1_sel:BYTE_0
	v_and_b32_sdwa v5, v2, s4 dst_sel:DWORD dst_unused:UNUSED_PAD src0_sel:WORD_1 src1_sel:DWORD
	ds_write_b8 v0, v2 offset:256
	v_cndmask_b32_e64 v4, 0, 1, s[0:1]
	v_cmp_eq_u16_sdwa s[0:1], v3, v5 src0_sel:BYTE_0 src1_sel:DWORD
	s_waitcnt lgkmcnt(0)
	s_barrier
	v_cndmask_b32_e64 v6, 0, 1, s[0:1]
	v_cmp_eq_u16_sdwa s[0:1], v5, v2 src0_sel:DWORD src1_sel:BYTE_3
	v_lshlrev_b16_e32 v6, 8, v6
	v_or_b32_e32 v4, v4, v6
	v_cndmask_b32_e64 v5, 0, 1, s[0:1]
	v_or_b32_sdwa v5, v5, s8 dst_sel:WORD_1 dst_unused:UNUSED_PAD src0_sel:DWORD src1_sel:DWORD
	s_nop 0
	v_or_b32_sdwa v6, v4, v5 dst_sel:DWORD dst_unused:UNUSED_PAD src0_sel:WORD_0 src1_sel:DWORD
	s_and_saveexec_b64 s[0:1], vcc
	s_cbranch_execz .LBB53_1
; %bb.3:                                ;   in Loop: Header=BB53_2 Depth=1
	ds_read_u8 v4, v0 offset:257
	v_and_b32_sdwa v5, v6, s4 dst_sel:DWORD dst_unused:UNUSED_PAD src0_sel:WORD_1 src1_sel:DWORD
	s_waitcnt lgkmcnt(0)
	v_cmp_eq_u16_sdwa s[10:11], v2, v4 src0_sel:BYTE_3 src1_sel:DWORD
	s_nop 1
	v_cndmask_b32_e64 v4, 0, 1, s[10:11]
	v_lshlrev_b16_e32 v4, 8, v4
	v_or_b32_sdwa v4, v5, v4 dst_sel:WORD_1 dst_unused:UNUSED_PAD src0_sel:DWORD src1_sel:DWORD
	s_nop 0
	v_and_or_b32 v6, v6, s3, v4
	s_branch .LBB53_1
.LBB53_4:
	s_add_u32 s0, s6, s2
	s_addc_u32 s1, s7, 0
	v_lshl_add_u64 v[0:1], s[0:1], 0, v[0:1]
	global_store_byte v[0:1], v4, off
	global_store_byte v[0:1], v3, off offset:256
	global_store_byte v[0:1], v5, off offset:512
	;; [unrolled: 1-line block ×3, first 2 shown]
	s_endpgm
	.section	.rodata,"a",@progbits
	.p2align	6, 0x0
	.amdhsa_kernel _Z6kernelI10flag_tailsaLj256ELj4ELb0ELj100EEvPKT0_PS1_
		.amdhsa_group_segment_fixed_size 512
		.amdhsa_private_segment_fixed_size 0
		.amdhsa_kernarg_size 16
		.amdhsa_user_sgpr_count 2
		.amdhsa_user_sgpr_dispatch_ptr 0
		.amdhsa_user_sgpr_queue_ptr 0
		.amdhsa_user_sgpr_kernarg_segment_ptr 1
		.amdhsa_user_sgpr_dispatch_id 0
		.amdhsa_user_sgpr_kernarg_preload_length 0
		.amdhsa_user_sgpr_kernarg_preload_offset 0
		.amdhsa_user_sgpr_private_segment_size 0
		.amdhsa_uses_dynamic_stack 0
		.amdhsa_enable_private_segment 0
		.amdhsa_system_sgpr_workgroup_id_x 1
		.amdhsa_system_sgpr_workgroup_id_y 0
		.amdhsa_system_sgpr_workgroup_id_z 0
		.amdhsa_system_sgpr_workgroup_info 0
		.amdhsa_system_vgpr_workitem_id 0
		.amdhsa_next_free_vgpr 8
		.amdhsa_next_free_sgpr 12
		.amdhsa_accum_offset 8
		.amdhsa_reserve_vcc 1
		.amdhsa_float_round_mode_32 0
		.amdhsa_float_round_mode_16_64 0
		.amdhsa_float_denorm_mode_32 3
		.amdhsa_float_denorm_mode_16_64 3
		.amdhsa_dx10_clamp 1
		.amdhsa_ieee_mode 1
		.amdhsa_fp16_overflow 0
		.amdhsa_tg_split 0
		.amdhsa_exception_fp_ieee_invalid_op 0
		.amdhsa_exception_fp_denorm_src 0
		.amdhsa_exception_fp_ieee_div_zero 0
		.amdhsa_exception_fp_ieee_overflow 0
		.amdhsa_exception_fp_ieee_underflow 0
		.amdhsa_exception_fp_ieee_inexact 0
		.amdhsa_exception_int_div_zero 0
	.end_amdhsa_kernel
	.section	.text._Z6kernelI10flag_tailsaLj256ELj4ELb0ELj100EEvPKT0_PS1_,"axG",@progbits,_Z6kernelI10flag_tailsaLj256ELj4ELb0ELj100EEvPKT0_PS1_,comdat
.Lfunc_end53:
	.size	_Z6kernelI10flag_tailsaLj256ELj4ELb0ELj100EEvPKT0_PS1_, .Lfunc_end53-_Z6kernelI10flag_tailsaLj256ELj4ELb0ELj100EEvPKT0_PS1_
                                        ; -- End function
	.section	.AMDGPU.csdata,"",@progbits
; Kernel info:
; codeLenInByte = 456
; NumSgprs: 18
; NumVgprs: 8
; NumAgprs: 0
; TotalNumVgprs: 8
; ScratchSize: 0
; MemoryBound: 0
; FloatMode: 240
; IeeeMode: 1
; LDSByteSize: 512 bytes/workgroup (compile time only)
; SGPRBlocks: 2
; VGPRBlocks: 0
; NumSGPRsForWavesPerEU: 18
; NumVGPRsForWavesPerEU: 8
; AccumOffset: 8
; Occupancy: 8
; WaveLimiterHint : 1
; COMPUTE_PGM_RSRC2:SCRATCH_EN: 0
; COMPUTE_PGM_RSRC2:USER_SGPR: 2
; COMPUTE_PGM_RSRC2:TRAP_HANDLER: 0
; COMPUTE_PGM_RSRC2:TGID_X_EN: 1
; COMPUTE_PGM_RSRC2:TGID_Y_EN: 0
; COMPUTE_PGM_RSRC2:TGID_Z_EN: 0
; COMPUTE_PGM_RSRC2:TIDIG_COMP_CNT: 0
; COMPUTE_PGM_RSRC3_GFX90A:ACCUM_OFFSET: 1
; COMPUTE_PGM_RSRC3_GFX90A:TG_SPLIT: 0
	.section	.text._Z6kernelI10flag_tailsaLj256ELj8ELb0ELj100EEvPKT0_PS1_,"axG",@progbits,_Z6kernelI10flag_tailsaLj256ELj8ELb0ELj100EEvPKT0_PS1_,comdat
	.protected	_Z6kernelI10flag_tailsaLj256ELj8ELb0ELj100EEvPKT0_PS1_ ; -- Begin function _Z6kernelI10flag_tailsaLj256ELj8ELb0ELj100EEvPKT0_PS1_
	.globl	_Z6kernelI10flag_tailsaLj256ELj8ELb0ELj100EEvPKT0_PS1_
	.p2align	8
	.type	_Z6kernelI10flag_tailsaLj256ELj8ELb0ELj100EEvPKT0_PS1_,@function
_Z6kernelI10flag_tailsaLj256ELj8ELb0ELj100EEvPKT0_PS1_: ; @_Z6kernelI10flag_tailsaLj256ELj8ELb0ELj100EEvPKT0_PS1_
; %bb.0:
	s_load_dwordx4 s[4:7], s[0:1], 0x0
	s_lshl_b32 s2, s2, 11
	s_movk_i32 s3, 0xff
	v_mov_b32_e32 v1, 0
	s_mov_b32 s8, 0x3020104
	s_waitcnt lgkmcnt(0)
	s_add_u32 s0, s4, s2
	s_addc_u32 s1, s5, 0
	global_load_ubyte v2, v0, s[0:1] offset:256
	global_load_ubyte v3, v0, s[0:1] offset:768
	;; [unrolled: 1-line block ×4, first 2 shown]
	global_load_ubyte v6, v0, s[0:1]
	global_load_ubyte v7, v0, s[0:1] offset:512
	global_load_ubyte v8, v0, s[0:1] offset:1024
	;; [unrolled: 1-line block ×3, first 2 shown]
	s_movk_i32 s4, 0x64
	s_movk_i32 s5, 0x100
	v_cmp_ne_u32_e32 vcc, s3, v0
	s_waitcnt vmcnt(7)
	v_lshlrev_b16_e32 v2, 8, v2
	s_waitcnt vmcnt(6)
	v_lshlrev_b16_e32 v3, 8, v3
	;; [unrolled: 2-line block ×4, first 2 shown]
	s_waitcnt vmcnt(3)
	v_or_b32_e32 v2, v6, v2
	s_waitcnt vmcnt(2)
	v_or_b32_sdwa v3, v7, v3 dst_sel:WORD_1 dst_unused:UNUSED_PAD src0_sel:DWORD src1_sel:DWORD
	s_waitcnt vmcnt(1)
	v_or_b32_e32 v4, v8, v4
	s_waitcnt vmcnt(0)
	v_or_b32_sdwa v5, v9, v5 dst_sel:WORD_1 dst_unused:UNUSED_PAD src0_sel:DWORD src1_sel:DWORD
	v_or_b32_sdwa v2, v2, v3 dst_sel:DWORD dst_unused:UNUSED_PAD src0_sel:WORD_0 src1_sel:DWORD
	v_or_b32_sdwa v3, v4, v5 dst_sel:DWORD dst_unused:UNUSED_PAD src0_sel:WORD_0 src1_sel:DWORD
	v_mov_b32_e32 v6, 8
	s_branch .LBB54_2
.LBB54_1:                               ;   in Loop: Header=BB54_2 Depth=1
	s_or_b64 exec, exec, s[0:1]
	v_lshrrev_b32_e32 v10, 8, v9
	v_add_u16_e32 v8, v10, v8
	v_lshrrev_b32_e32 v10, 16, v9
	v_lshrrev_b32_e32 v11, 16, v12
	v_add_u16_e32 v5, v9, v2
	v_add_u16_sdwa v10, v10, v2 dst_sel:DWORD dst_unused:UNUSED_PAD src0_sel:DWORD src1_sel:WORD_1
	v_add_u16_sdwa v4, v9, v4 dst_sel:DWORD dst_unused:UNUSED_PAD src0_sel:BYTE_3 src1_sel:DWORD
	v_lshrrev_b32_e32 v2, 24, v12
	v_lshrrev_b32_e32 v13, 8, v12
	v_add_u16_e32 v9, v12, v3
	v_add_u16_sdwa v11, v11, v3 dst_sel:DWORD dst_unused:UNUSED_PAD src0_sel:DWORD src1_sel:WORD_1
	v_add_u16_sdwa v12, v2, v3 dst_sel:DWORD dst_unused:UNUSED_PAD src0_sel:DWORD src1_sel:BYTE_3
	v_lshlrev_b16_e32 v2, 8, v8
	v_lshlrev_b16_e32 v3, 8, v4
	v_add_u16_e32 v7, v13, v7
	v_or_b32_sdwa v2, v5, v2 dst_sel:DWORD dst_unused:UNUSED_PAD src0_sel:BYTE_0 src1_sel:DWORD
	v_or_b32_sdwa v3, v10, v3 dst_sel:WORD_1 dst_unused:UNUSED_PAD src0_sel:BYTE_0 src1_sel:DWORD
	v_lshlrev_b16_e32 v13, 8, v12
	v_or_b32_sdwa v2, v2, v3 dst_sel:DWORD dst_unused:UNUSED_PAD src0_sel:WORD_0 src1_sel:DWORD
	v_lshlrev_b16_e32 v3, 8, v7
	v_or_b32_sdwa v3, v9, v3 dst_sel:DWORD dst_unused:UNUSED_PAD src0_sel:BYTE_0 src1_sel:DWORD
	v_or_b32_sdwa v13, v11, v13 dst_sel:WORD_1 dst_unused:UNUSED_PAD src0_sel:BYTE_0 src1_sel:DWORD
	s_add_i32 s4, s4, -1
	s_cmp_lg_u32 s4, 0
	v_or_b32_sdwa v3, v3, v13 dst_sel:DWORD dst_unused:UNUSED_PAD src0_sel:WORD_0 src1_sel:DWORD
	s_barrier
	s_cbranch_scc0 .LBB54_4
.LBB54_2:                               ; =>This Inner Loop Header: Depth=1
	v_lshrrev_b32_e32 v8, 8, v2
	v_cmp_eq_u16_sdwa s[0:1], v2, v8 src0_sel:BYTE_0 src1_sel:BYTE_0
	v_and_b32_sdwa v10, v2, s3 dst_sel:DWORD dst_unused:UNUSED_PAD src0_sel:WORD_1 src1_sel:DWORD
	v_lshrrev_b64 v[4:5], 24, v[2:3]
	v_cndmask_b32_e64 v9, 0, 1, s[0:1]
	v_cmp_eq_u16_sdwa s[0:1], v8, v10 src0_sel:BYTE_0 src1_sel:DWORD
	v_lshrrev_b32_e32 v7, 8, v3
	v_and_b32_sdwa v13, v3, s3 dst_sel:DWORD dst_unused:UNUSED_PAD src0_sel:WORD_1 src1_sel:DWORD
	v_cndmask_b32_e64 v11, 0, 1, s[0:1]
	v_cmp_eq_u16_sdwa s[0:1], v10, v4 src0_sel:DWORD src1_sel:BYTE_0
	v_lshlrev_b16_e32 v11, 8, v11
	v_or_b32_e32 v9, v9, v11
	v_cndmask_b32_e64 v5, 0, 1, s[0:1]
	v_cmp_eq_u16_sdwa s[0:1], v4, v3 src0_sel:BYTE_0 src1_sel:BYTE_0
	ds_write_b8 v0, v2 offset:256
	s_waitcnt lgkmcnt(0)
	v_cndmask_b32_e64 v10, 0, 1, s[0:1]
	v_cmp_eq_u16_sdwa s[0:1], v3, v7 src0_sel:BYTE_0 src1_sel:BYTE_0
	v_lshlrev_b16_e32 v10, 8, v10
	v_or_b32_sdwa v5, v5, v10 dst_sel:WORD_1 dst_unused:UNUSED_PAD src0_sel:DWORD src1_sel:DWORD
	v_cndmask_b32_e64 v12, 0, 1, s[0:1]
	v_cmp_eq_u16_sdwa s[0:1], v7, v13 src0_sel:BYTE_0 src1_sel:DWORD
	v_or_b32_sdwa v9, v9, v5 dst_sel:DWORD dst_unused:UNUSED_PAD src0_sel:WORD_0 src1_sel:DWORD
	s_barrier
	v_cndmask_b32_e64 v14, 0, 1, s[0:1]
	v_cmp_eq_u16_sdwa s[0:1], v13, v3 src0_sel:DWORD src1_sel:BYTE_3
	v_lshlrev_b16_e32 v5, 8, v14
	v_or_b32_e32 v5, v12, v5
	v_cndmask_b32_e64 v13, 0, 1, s[0:1]
	v_or_b32_sdwa v10, v13, s5 dst_sel:WORD_1 dst_unused:UNUSED_PAD src0_sel:DWORD src1_sel:DWORD
	s_nop 0
	v_or_b32_sdwa v12, v5, v10 dst_sel:DWORD dst_unused:UNUSED_PAD src0_sel:WORD_0 src1_sel:DWORD
	s_and_saveexec_b64 s[0:1], vcc
	s_cbranch_execz .LBB54_1
; %bb.3:                                ;   in Loop: Header=BB54_2 Depth=1
	ds_read_u8 v5, v0 offset:257
	v_lshrrev_b32_sdwa v10, v6, v12 dst_sel:BYTE_1 dst_unused:UNUSED_PAD src0_sel:DWORD src1_sel:DWORD
	v_and_b32_sdwa v11, v12, s3 dst_sel:DWORD dst_unused:UNUSED_PAD src0_sel:WORD_1 src1_sel:DWORD
	v_or_b32_sdwa v10, v12, v10 dst_sel:DWORD dst_unused:UNUSED_PAD src0_sel:BYTE_0 src1_sel:DWORD
	v_perm_b32 v9, v9, v9, s8
	s_waitcnt lgkmcnt(0)
	v_cmp_eq_u16_sdwa s[10:11], v3, v5 src0_sel:BYTE_3 src1_sel:DWORD
	s_nop 1
	v_cndmask_b32_e64 v5, 0, 1, s[10:11]
	v_lshlrev_b16_e32 v5, 8, v5
	v_or_b32_sdwa v5, v11, v5 dst_sel:WORD_1 dst_unused:UNUSED_PAD src0_sel:DWORD src1_sel:DWORD
	s_nop 0
	v_or_b32_sdwa v12, v10, v5 dst_sel:DWORD dst_unused:UNUSED_PAD src0_sel:WORD_0 src1_sel:DWORD
	s_branch .LBB54_1
.LBB54_4:
	s_add_u32 s0, s6, s2
	s_addc_u32 s1, s7, 0
	v_lshl_add_u64 v[0:1], s[0:1], 0, v[0:1]
	global_store_byte v[0:1], v5, off
	global_store_byte v[0:1], v8, off offset:256
	global_store_byte v[0:1], v10, off offset:512
	;; [unrolled: 1-line block ×7, first 2 shown]
	s_endpgm
	.section	.rodata,"a",@progbits
	.p2align	6, 0x0
	.amdhsa_kernel _Z6kernelI10flag_tailsaLj256ELj8ELb0ELj100EEvPKT0_PS1_
		.amdhsa_group_segment_fixed_size 512
		.amdhsa_private_segment_fixed_size 0
		.amdhsa_kernarg_size 16
		.amdhsa_user_sgpr_count 2
		.amdhsa_user_sgpr_dispatch_ptr 0
		.amdhsa_user_sgpr_queue_ptr 0
		.amdhsa_user_sgpr_kernarg_segment_ptr 1
		.amdhsa_user_sgpr_dispatch_id 0
		.amdhsa_user_sgpr_kernarg_preload_length 0
		.amdhsa_user_sgpr_kernarg_preload_offset 0
		.amdhsa_user_sgpr_private_segment_size 0
		.amdhsa_uses_dynamic_stack 0
		.amdhsa_enable_private_segment 0
		.amdhsa_system_sgpr_workgroup_id_x 1
		.amdhsa_system_sgpr_workgroup_id_y 0
		.amdhsa_system_sgpr_workgroup_id_z 0
		.amdhsa_system_sgpr_workgroup_info 0
		.amdhsa_system_vgpr_workitem_id 0
		.amdhsa_next_free_vgpr 15
		.amdhsa_next_free_sgpr 12
		.amdhsa_accum_offset 16
		.amdhsa_reserve_vcc 1
		.amdhsa_float_round_mode_32 0
		.amdhsa_float_round_mode_16_64 0
		.amdhsa_float_denorm_mode_32 3
		.amdhsa_float_denorm_mode_16_64 3
		.amdhsa_dx10_clamp 1
		.amdhsa_ieee_mode 1
		.amdhsa_fp16_overflow 0
		.amdhsa_tg_split 0
		.amdhsa_exception_fp_ieee_invalid_op 0
		.amdhsa_exception_fp_denorm_src 0
		.amdhsa_exception_fp_ieee_div_zero 0
		.amdhsa_exception_fp_ieee_overflow 0
		.amdhsa_exception_fp_ieee_underflow 0
		.amdhsa_exception_fp_ieee_inexact 0
		.amdhsa_exception_int_div_zero 0
	.end_amdhsa_kernel
	.section	.text._Z6kernelI10flag_tailsaLj256ELj8ELb0ELj100EEvPKT0_PS1_,"axG",@progbits,_Z6kernelI10flag_tailsaLj256ELj8ELb0ELj100EEvPKT0_PS1_,comdat
.Lfunc_end54:
	.size	_Z6kernelI10flag_tailsaLj256ELj8ELb0ELj100EEvPKT0_PS1_, .Lfunc_end54-_Z6kernelI10flag_tailsaLj256ELj8ELb0ELj100EEvPKT0_PS1_
                                        ; -- End function
	.section	.AMDGPU.csdata,"",@progbits
; Kernel info:
; codeLenInByte = 764
; NumSgprs: 18
; NumVgprs: 15
; NumAgprs: 0
; TotalNumVgprs: 15
; ScratchSize: 0
; MemoryBound: 0
; FloatMode: 240
; IeeeMode: 1
; LDSByteSize: 512 bytes/workgroup (compile time only)
; SGPRBlocks: 2
; VGPRBlocks: 1
; NumSGPRsForWavesPerEU: 18
; NumVGPRsForWavesPerEU: 15
; AccumOffset: 16
; Occupancy: 8
; WaveLimiterHint : 1
; COMPUTE_PGM_RSRC2:SCRATCH_EN: 0
; COMPUTE_PGM_RSRC2:USER_SGPR: 2
; COMPUTE_PGM_RSRC2:TRAP_HANDLER: 0
; COMPUTE_PGM_RSRC2:TGID_X_EN: 1
; COMPUTE_PGM_RSRC2:TGID_Y_EN: 0
; COMPUTE_PGM_RSRC2:TGID_Z_EN: 0
; COMPUTE_PGM_RSRC2:TIDIG_COMP_CNT: 0
; COMPUTE_PGM_RSRC3_GFX90A:ACCUM_OFFSET: 3
; COMPUTE_PGM_RSRC3_GFX90A:TG_SPLIT: 0
	.section	.text._Z6kernelI10flag_tailsaLj256ELj1ELb1ELj100EEvPKT0_PS1_,"axG",@progbits,_Z6kernelI10flag_tailsaLj256ELj1ELb1ELj100EEvPKT0_PS1_,comdat
	.protected	_Z6kernelI10flag_tailsaLj256ELj1ELb1ELj100EEvPKT0_PS1_ ; -- Begin function _Z6kernelI10flag_tailsaLj256ELj1ELb1ELj100EEvPKT0_PS1_
	.globl	_Z6kernelI10flag_tailsaLj256ELj1ELb1ELj100EEvPKT0_PS1_
	.p2align	8
	.type	_Z6kernelI10flag_tailsaLj256ELj1ELb1ELj100EEvPKT0_PS1_,@function
_Z6kernelI10flag_tailsaLj256ELj1ELb1ELj100EEvPKT0_PS1_: ; @_Z6kernelI10flag_tailsaLj256ELj1ELb1ELj100EEvPKT0_PS1_
; %bb.0:
	s_load_dwordx4 s[4:7], s[0:1], 0x0
	s_lshl_b32 s2, s2, 8
	v_mov_b32_e32 v1, 0
	s_movk_i32 s3, 0x64
	s_waitcnt lgkmcnt(0)
	s_add_u32 s0, s4, s2
	s_addc_u32 s1, s5, 0
	global_load_ubyte v2, v0, s[0:1]
	s_movk_i32 s0, 0xff
	v_cmp_ne_u32_e32 vcc, s0, v0
	s_branch .LBB55_2
.LBB55_1:                               ;   in Loop: Header=BB55_2 Depth=1
	s_or_b64 exec, exec, s[0:1]
	s_waitcnt lgkmcnt(0)
	v_cmp_eq_u16_sdwa s[0:1], v2, v3 src0_sel:BYTE_0 src1_sel:BYTE_0
	s_add_i32 s3, s3, -1
	s_cmp_lg_u32 s3, 0
	v_cndmask_b32_e64 v3, 0, 1, s[0:1]
	v_add_u16_e32 v2, v2, v3
	s_barrier
	s_cbranch_scc0 .LBB55_4
.LBB55_2:                               ; =>This Inner Loop Header: Depth=1
	v_mov_b32_e32 v3, 0x7b
	s_waitcnt vmcnt(0)
	ds_write_b8 v0, v2 offset:256
	s_waitcnt lgkmcnt(0)
	s_barrier
	s_and_saveexec_b64 s[0:1], vcc
	s_cbranch_execz .LBB55_1
; %bb.3:                                ;   in Loop: Header=BB55_2 Depth=1
	ds_read_u8 v3, v0 offset:257
	s_branch .LBB55_1
.LBB55_4:
	s_add_u32 s0, s6, s2
	s_addc_u32 s1, s7, 0
	v_lshl_add_u64 v[0:1], s[0:1], 0, v[0:1]
	global_store_byte v[0:1], v2, off
	s_endpgm
	.section	.rodata,"a",@progbits
	.p2align	6, 0x0
	.amdhsa_kernel _Z6kernelI10flag_tailsaLj256ELj1ELb1ELj100EEvPKT0_PS1_
		.amdhsa_group_segment_fixed_size 512
		.amdhsa_private_segment_fixed_size 0
		.amdhsa_kernarg_size 16
		.amdhsa_user_sgpr_count 2
		.amdhsa_user_sgpr_dispatch_ptr 0
		.amdhsa_user_sgpr_queue_ptr 0
		.amdhsa_user_sgpr_kernarg_segment_ptr 1
		.amdhsa_user_sgpr_dispatch_id 0
		.amdhsa_user_sgpr_kernarg_preload_length 0
		.amdhsa_user_sgpr_kernarg_preload_offset 0
		.amdhsa_user_sgpr_private_segment_size 0
		.amdhsa_uses_dynamic_stack 0
		.amdhsa_enable_private_segment 0
		.amdhsa_system_sgpr_workgroup_id_x 1
		.amdhsa_system_sgpr_workgroup_id_y 0
		.amdhsa_system_sgpr_workgroup_id_z 0
		.amdhsa_system_sgpr_workgroup_info 0
		.amdhsa_system_vgpr_workitem_id 0
		.amdhsa_next_free_vgpr 4
		.amdhsa_next_free_sgpr 8
		.amdhsa_accum_offset 4
		.amdhsa_reserve_vcc 1
		.amdhsa_float_round_mode_32 0
		.amdhsa_float_round_mode_16_64 0
		.amdhsa_float_denorm_mode_32 3
		.amdhsa_float_denorm_mode_16_64 3
		.amdhsa_dx10_clamp 1
		.amdhsa_ieee_mode 1
		.amdhsa_fp16_overflow 0
		.amdhsa_tg_split 0
		.amdhsa_exception_fp_ieee_invalid_op 0
		.amdhsa_exception_fp_denorm_src 0
		.amdhsa_exception_fp_ieee_div_zero 0
		.amdhsa_exception_fp_ieee_overflow 0
		.amdhsa_exception_fp_ieee_underflow 0
		.amdhsa_exception_fp_ieee_inexact 0
		.amdhsa_exception_int_div_zero 0
	.end_amdhsa_kernel
	.section	.text._Z6kernelI10flag_tailsaLj256ELj1ELb1ELj100EEvPKT0_PS1_,"axG",@progbits,_Z6kernelI10flag_tailsaLj256ELj1ELb1ELj100EEvPKT0_PS1_,comdat
.Lfunc_end55:
	.size	_Z6kernelI10flag_tailsaLj256ELj1ELb1ELj100EEvPKT0_PS1_, .Lfunc_end55-_Z6kernelI10flag_tailsaLj256ELj1ELb1ELj100EEvPKT0_PS1_
                                        ; -- End function
	.section	.AMDGPU.csdata,"",@progbits
; Kernel info:
; codeLenInByte = 172
; NumSgprs: 14
; NumVgprs: 4
; NumAgprs: 0
; TotalNumVgprs: 4
; ScratchSize: 0
; MemoryBound: 0
; FloatMode: 240
; IeeeMode: 1
; LDSByteSize: 512 bytes/workgroup (compile time only)
; SGPRBlocks: 1
; VGPRBlocks: 0
; NumSGPRsForWavesPerEU: 14
; NumVGPRsForWavesPerEU: 4
; AccumOffset: 4
; Occupancy: 8
; WaveLimiterHint : 0
; COMPUTE_PGM_RSRC2:SCRATCH_EN: 0
; COMPUTE_PGM_RSRC2:USER_SGPR: 2
; COMPUTE_PGM_RSRC2:TRAP_HANDLER: 0
; COMPUTE_PGM_RSRC2:TGID_X_EN: 1
; COMPUTE_PGM_RSRC2:TGID_Y_EN: 0
; COMPUTE_PGM_RSRC2:TGID_Z_EN: 0
; COMPUTE_PGM_RSRC2:TIDIG_COMP_CNT: 0
; COMPUTE_PGM_RSRC3_GFX90A:ACCUM_OFFSET: 0
; COMPUTE_PGM_RSRC3_GFX90A:TG_SPLIT: 0
	.section	.text._Z6kernelI10flag_tailsaLj256ELj2ELb1ELj100EEvPKT0_PS1_,"axG",@progbits,_Z6kernelI10flag_tailsaLj256ELj2ELb1ELj100EEvPKT0_PS1_,comdat
	.protected	_Z6kernelI10flag_tailsaLj256ELj2ELb1ELj100EEvPKT0_PS1_ ; -- Begin function _Z6kernelI10flag_tailsaLj256ELj2ELb1ELj100EEvPKT0_PS1_
	.globl	_Z6kernelI10flag_tailsaLj256ELj2ELb1ELj100EEvPKT0_PS1_
	.p2align	8
	.type	_Z6kernelI10flag_tailsaLj256ELj2ELb1ELj100EEvPKT0_PS1_,@function
_Z6kernelI10flag_tailsaLj256ELj2ELb1ELj100EEvPKT0_PS1_: ; @_Z6kernelI10flag_tailsaLj256ELj2ELb1ELj100EEvPKT0_PS1_
; %bb.0:
	s_load_dwordx4 s[4:7], s[0:1], 0x0
	s_lshl_b32 s2, s2, 9
	v_mov_b32_e32 v1, 0
	s_movk_i32 s3, 0x64
	s_waitcnt lgkmcnt(0)
	s_add_u32 s0, s4, s2
	s_addc_u32 s1, s5, 0
	global_load_ubyte v2, v0, s[0:1] offset:256
	global_load_ubyte v3, v0, s[0:1]
	s_movk_i32 s0, 0xff
	v_cmp_ne_u32_e32 vcc, s0, v0
	s_waitcnt vmcnt(1)
	v_lshlrev_b16_e32 v2, 8, v2
	s_waitcnt vmcnt(0)
	v_or_b32_e32 v2, v3, v2
	v_and_b32_e32 v2, 0xffff, v2
	s_branch .LBB56_2
.LBB56_1:                               ;   in Loop: Header=BB56_2 Depth=1
	s_or_b64 exec, exec, s[0:1]
	v_cmp_eq_u16_sdwa s[0:1], v2, v2 src0_sel:BYTE_0 src1_sel:BYTE_1
	s_add_i32 s3, s3, -1
	s_cmp_lg_u32 s3, 0
	v_cndmask_b32_e64 v4, 0, 1, s[0:1]
	s_waitcnt lgkmcnt(0)
	v_cmp_eq_u16_sdwa s[0:1], v2, v3 src0_sel:BYTE_1 src1_sel:BYTE_0
	v_add_u16_e32 v3, v2, v4
	s_nop 0
	v_cndmask_b32_e64 v5, 0, 1, s[0:1]
	v_add_u16_sdwa v4, v2, v5 dst_sel:DWORD dst_unused:UNUSED_PAD src0_sel:BYTE_1 src1_sel:DWORD
	v_lshlrev_b16_e32 v2, 8, v4
	v_or_b32_sdwa v2, v3, v2 dst_sel:DWORD dst_unused:UNUSED_PAD src0_sel:BYTE_0 src1_sel:DWORD
	v_and_b32_e32 v2, 0xffff, v2
	s_barrier
	s_cbranch_scc0 .LBB56_4
.LBB56_2:                               ; =>This Inner Loop Header: Depth=1
	v_mov_b32_e32 v3, 0x7b
	ds_write_b8 v0, v2 offset:256
	s_waitcnt lgkmcnt(0)
	s_barrier
	s_and_saveexec_b64 s[0:1], vcc
	s_cbranch_execz .LBB56_1
; %bb.3:                                ;   in Loop: Header=BB56_2 Depth=1
	ds_read_u8 v3, v0 offset:257
	s_branch .LBB56_1
.LBB56_4:
	s_add_u32 s0, s6, s2
	s_addc_u32 s1, s7, 0
	v_lshl_add_u64 v[0:1], s[0:1], 0, v[0:1]
	global_store_byte v[0:1], v3, off
	global_store_byte v[0:1], v4, off offset:256
	s_endpgm
	.section	.rodata,"a",@progbits
	.p2align	6, 0x0
	.amdhsa_kernel _Z6kernelI10flag_tailsaLj256ELj2ELb1ELj100EEvPKT0_PS1_
		.amdhsa_group_segment_fixed_size 512
		.amdhsa_private_segment_fixed_size 0
		.amdhsa_kernarg_size 16
		.amdhsa_user_sgpr_count 2
		.amdhsa_user_sgpr_dispatch_ptr 0
		.amdhsa_user_sgpr_queue_ptr 0
		.amdhsa_user_sgpr_kernarg_segment_ptr 1
		.amdhsa_user_sgpr_dispatch_id 0
		.amdhsa_user_sgpr_kernarg_preload_length 0
		.amdhsa_user_sgpr_kernarg_preload_offset 0
		.amdhsa_user_sgpr_private_segment_size 0
		.amdhsa_uses_dynamic_stack 0
		.amdhsa_enable_private_segment 0
		.amdhsa_system_sgpr_workgroup_id_x 1
		.amdhsa_system_sgpr_workgroup_id_y 0
		.amdhsa_system_sgpr_workgroup_id_z 0
		.amdhsa_system_sgpr_workgroup_info 0
		.amdhsa_system_vgpr_workitem_id 0
		.amdhsa_next_free_vgpr 6
		.amdhsa_next_free_sgpr 8
		.amdhsa_accum_offset 8
		.amdhsa_reserve_vcc 1
		.amdhsa_float_round_mode_32 0
		.amdhsa_float_round_mode_16_64 0
		.amdhsa_float_denorm_mode_32 3
		.amdhsa_float_denorm_mode_16_64 3
		.amdhsa_dx10_clamp 1
		.amdhsa_ieee_mode 1
		.amdhsa_fp16_overflow 0
		.amdhsa_tg_split 0
		.amdhsa_exception_fp_ieee_invalid_op 0
		.amdhsa_exception_fp_denorm_src 0
		.amdhsa_exception_fp_ieee_div_zero 0
		.amdhsa_exception_fp_ieee_overflow 0
		.amdhsa_exception_fp_ieee_underflow 0
		.amdhsa_exception_fp_ieee_inexact 0
		.amdhsa_exception_int_div_zero 0
	.end_amdhsa_kernel
	.section	.text._Z6kernelI10flag_tailsaLj256ELj2ELb1ELj100EEvPKT0_PS1_,"axG",@progbits,_Z6kernelI10flag_tailsaLj256ELj2ELb1ELj100EEvPKT0_PS1_,comdat
.Lfunc_end56:
	.size	_Z6kernelI10flag_tailsaLj256ELj2ELb1ELj100EEvPKT0_PS1_, .Lfunc_end56-_Z6kernelI10flag_tailsaLj256ELj2ELb1ELj100EEvPKT0_PS1_
                                        ; -- End function
	.section	.AMDGPU.csdata,"",@progbits
; Kernel info:
; codeLenInByte = 256
; NumSgprs: 14
; NumVgprs: 6
; NumAgprs: 0
; TotalNumVgprs: 6
; ScratchSize: 0
; MemoryBound: 0
; FloatMode: 240
; IeeeMode: 1
; LDSByteSize: 512 bytes/workgroup (compile time only)
; SGPRBlocks: 1
; VGPRBlocks: 0
; NumSGPRsForWavesPerEU: 14
; NumVGPRsForWavesPerEU: 6
; AccumOffset: 8
; Occupancy: 8
; WaveLimiterHint : 1
; COMPUTE_PGM_RSRC2:SCRATCH_EN: 0
; COMPUTE_PGM_RSRC2:USER_SGPR: 2
; COMPUTE_PGM_RSRC2:TRAP_HANDLER: 0
; COMPUTE_PGM_RSRC2:TGID_X_EN: 1
; COMPUTE_PGM_RSRC2:TGID_Y_EN: 0
; COMPUTE_PGM_RSRC2:TGID_Z_EN: 0
; COMPUTE_PGM_RSRC2:TIDIG_COMP_CNT: 0
; COMPUTE_PGM_RSRC3_GFX90A:ACCUM_OFFSET: 1
; COMPUTE_PGM_RSRC3_GFX90A:TG_SPLIT: 0
	.section	.text._Z6kernelI10flag_tailsaLj256ELj3ELb1ELj100EEvPKT0_PS1_,"axG",@progbits,_Z6kernelI10flag_tailsaLj256ELj3ELb1ELj100EEvPKT0_PS1_,comdat
	.protected	_Z6kernelI10flag_tailsaLj256ELj3ELb1ELj100EEvPKT0_PS1_ ; -- Begin function _Z6kernelI10flag_tailsaLj256ELj3ELb1ELj100EEvPKT0_PS1_
	.globl	_Z6kernelI10flag_tailsaLj256ELj3ELb1ELj100EEvPKT0_PS1_
	.p2align	8
	.type	_Z6kernelI10flag_tailsaLj256ELj3ELb1ELj100EEvPKT0_PS1_,@function
_Z6kernelI10flag_tailsaLj256ELj3ELb1ELj100EEvPKT0_PS1_: ; @_Z6kernelI10flag_tailsaLj256ELj3ELb1ELj100EEvPKT0_PS1_
; %bb.0:
	s_load_dwordx4 s[4:7], s[0:1], 0x0
	s_mulk_i32 s2, 0x300
	s_movk_i32 s3, 0xff
	v_mov_b32_e32 v1, 0
	v_cmp_ne_u32_e32 vcc, s3, v0
	s_waitcnt lgkmcnt(0)
	s_add_u32 s0, s4, s2
	s_addc_u32 s1, s5, 0
	global_load_ubyte v2, v0, s[0:1] offset:256
	global_load_ubyte v3, v0, s[0:1]
	global_load_ubyte v4, v0, s[0:1] offset:512
	s_movk_i32 s4, 0x64
	s_waitcnt vmcnt(2)
	v_lshlrev_b16_e32 v2, 8, v2
	s_waitcnt vmcnt(1)
	v_or_b32_e32 v2, v3, v2
	v_and_b32_e32 v2, 0xffff, v2
	s_waitcnt vmcnt(0)
	v_lshl_or_b32 v2, v4, 16, v2
	s_branch .LBB57_2
.LBB57_1:                               ;   in Loop: Header=BB57_2 Depth=1
	s_or_b64 exec, exec, s[0:1]
	v_lshrrev_b32_e32 v4, 8, v2
	v_cmp_eq_u16_sdwa s[0:1], v2, v4 src0_sel:BYTE_0 src1_sel:BYTE_0
	v_and_b32_sdwa v6, v2, s3 dst_sel:DWORD dst_unused:UNUSED_PAD src0_sel:WORD_1 src1_sel:DWORD
	s_add_i32 s4, s4, -1
	v_cndmask_b32_e64 v5, 0, 1, s[0:1]
	v_cmp_eq_u16_sdwa s[0:1], v4, v6 src0_sel:BYTE_0 src1_sel:DWORD
	s_cmp_lg_u32 s4, 0
	s_waitcnt lgkmcnt(0)
	v_cndmask_b32_e64 v7, 0, 1, s[0:1]
	v_cmp_eq_u16_sdwa s[0:1], v6, v3 src0_sel:DWORD src1_sel:BYTE_0
	v_add_u16_e32 v3, v2, v5
	v_add_u16_e32 v4, v4, v7
	v_cndmask_b32_e64 v6, 0, 1, s[0:1]
	v_add_u16_sdwa v5, v2, v6 dst_sel:DWORD dst_unused:UNUSED_PAD src0_sel:WORD_1 src1_sel:DWORD
	v_lshlrev_b16_e32 v2, 8, v4
	v_and_b32_e32 v6, 0xff, v5
	v_or_b32_sdwa v2, v3, v2 dst_sel:DWORD dst_unused:UNUSED_PAD src0_sel:BYTE_0 src1_sel:DWORD
	v_lshlrev_b32_e32 v6, 16, v6
	v_or_b32_sdwa v2, v2, v6 dst_sel:DWORD dst_unused:UNUSED_PAD src0_sel:WORD_0 src1_sel:DWORD
	s_barrier
	s_cbranch_scc0 .LBB57_4
.LBB57_2:                               ; =>This Inner Loop Header: Depth=1
	v_mov_b32_e32 v3, 0x7b
	ds_write_b8 v0, v2 offset:256
	s_waitcnt lgkmcnt(0)
	s_barrier
	s_and_saveexec_b64 s[0:1], vcc
	s_cbranch_execz .LBB57_1
; %bb.3:                                ;   in Loop: Header=BB57_2 Depth=1
	ds_read_u8 v3, v0 offset:257
	s_branch .LBB57_1
.LBB57_4:
	s_add_u32 s0, s6, s2
	s_addc_u32 s1, s7, 0
	v_lshl_add_u64 v[0:1], s[0:1], 0, v[0:1]
	global_store_byte v[0:1], v3, off
	global_store_byte v[0:1], v4, off offset:256
	global_store_byte v[0:1], v5, off offset:512
	s_endpgm
	.section	.rodata,"a",@progbits
	.p2align	6, 0x0
	.amdhsa_kernel _Z6kernelI10flag_tailsaLj256ELj3ELb1ELj100EEvPKT0_PS1_
		.amdhsa_group_segment_fixed_size 512
		.amdhsa_private_segment_fixed_size 0
		.amdhsa_kernarg_size 16
		.amdhsa_user_sgpr_count 2
		.amdhsa_user_sgpr_dispatch_ptr 0
		.amdhsa_user_sgpr_queue_ptr 0
		.amdhsa_user_sgpr_kernarg_segment_ptr 1
		.amdhsa_user_sgpr_dispatch_id 0
		.amdhsa_user_sgpr_kernarg_preload_length 0
		.amdhsa_user_sgpr_kernarg_preload_offset 0
		.amdhsa_user_sgpr_private_segment_size 0
		.amdhsa_uses_dynamic_stack 0
		.amdhsa_enable_private_segment 0
		.amdhsa_system_sgpr_workgroup_id_x 1
		.amdhsa_system_sgpr_workgroup_id_y 0
		.amdhsa_system_sgpr_workgroup_id_z 0
		.amdhsa_system_sgpr_workgroup_info 0
		.amdhsa_system_vgpr_workitem_id 0
		.amdhsa_next_free_vgpr 8
		.amdhsa_next_free_sgpr 8
		.amdhsa_accum_offset 8
		.amdhsa_reserve_vcc 1
		.amdhsa_float_round_mode_32 0
		.amdhsa_float_round_mode_16_64 0
		.amdhsa_float_denorm_mode_32 3
		.amdhsa_float_denorm_mode_16_64 3
		.amdhsa_dx10_clamp 1
		.amdhsa_ieee_mode 1
		.amdhsa_fp16_overflow 0
		.amdhsa_tg_split 0
		.amdhsa_exception_fp_ieee_invalid_op 0
		.amdhsa_exception_fp_denorm_src 0
		.amdhsa_exception_fp_ieee_div_zero 0
		.amdhsa_exception_fp_ieee_overflow 0
		.amdhsa_exception_fp_ieee_underflow 0
		.amdhsa_exception_fp_ieee_inexact 0
		.amdhsa_exception_int_div_zero 0
	.end_amdhsa_kernel
	.section	.text._Z6kernelI10flag_tailsaLj256ELj3ELb1ELj100EEvPKT0_PS1_,"axG",@progbits,_Z6kernelI10flag_tailsaLj256ELj3ELb1ELj100EEvPKT0_PS1_,comdat
.Lfunc_end57:
	.size	_Z6kernelI10flag_tailsaLj256ELj3ELb1ELj100EEvPKT0_PS1_, .Lfunc_end57-_Z6kernelI10flag_tailsaLj256ELj3ELb1ELj100EEvPKT0_PS1_
                                        ; -- End function
	.section	.AMDGPU.csdata,"",@progbits
; Kernel info:
; codeLenInByte = 324
; NumSgprs: 14
; NumVgprs: 8
; NumAgprs: 0
; TotalNumVgprs: 8
; ScratchSize: 0
; MemoryBound: 0
; FloatMode: 240
; IeeeMode: 1
; LDSByteSize: 512 bytes/workgroup (compile time only)
; SGPRBlocks: 1
; VGPRBlocks: 0
; NumSGPRsForWavesPerEU: 14
; NumVGPRsForWavesPerEU: 8
; AccumOffset: 8
; Occupancy: 8
; WaveLimiterHint : 1
; COMPUTE_PGM_RSRC2:SCRATCH_EN: 0
; COMPUTE_PGM_RSRC2:USER_SGPR: 2
; COMPUTE_PGM_RSRC2:TRAP_HANDLER: 0
; COMPUTE_PGM_RSRC2:TGID_X_EN: 1
; COMPUTE_PGM_RSRC2:TGID_Y_EN: 0
; COMPUTE_PGM_RSRC2:TGID_Z_EN: 0
; COMPUTE_PGM_RSRC2:TIDIG_COMP_CNT: 0
; COMPUTE_PGM_RSRC3_GFX90A:ACCUM_OFFSET: 1
; COMPUTE_PGM_RSRC3_GFX90A:TG_SPLIT: 0
	.section	.text._Z6kernelI10flag_tailsaLj256ELj4ELb1ELj100EEvPKT0_PS1_,"axG",@progbits,_Z6kernelI10flag_tailsaLj256ELj4ELb1ELj100EEvPKT0_PS1_,comdat
	.protected	_Z6kernelI10flag_tailsaLj256ELj4ELb1ELj100EEvPKT0_PS1_ ; -- Begin function _Z6kernelI10flag_tailsaLj256ELj4ELb1ELj100EEvPKT0_PS1_
	.globl	_Z6kernelI10flag_tailsaLj256ELj4ELb1ELj100EEvPKT0_PS1_
	.p2align	8
	.type	_Z6kernelI10flag_tailsaLj256ELj4ELb1ELj100EEvPKT0_PS1_,@function
_Z6kernelI10flag_tailsaLj256ELj4ELb1ELj100EEvPKT0_PS1_: ; @_Z6kernelI10flag_tailsaLj256ELj4ELb1ELj100EEvPKT0_PS1_
; %bb.0:
	s_load_dwordx4 s[4:7], s[0:1], 0x0
	s_lshl_b32 s2, s2, 10
	s_movk_i32 s3, 0xff
	v_mov_b32_e32 v1, 0
	v_cmp_ne_u32_e32 vcc, s3, v0
	s_waitcnt lgkmcnt(0)
	s_add_u32 s0, s4, s2
	s_addc_u32 s1, s5, 0
	global_load_ubyte v2, v0, s[0:1] offset:256
	global_load_ubyte v3, v0, s[0:1] offset:768
	global_load_ubyte v4, v0, s[0:1]
	global_load_ubyte v5, v0, s[0:1] offset:512
	s_movk_i32 s4, 0x64
	s_waitcnt vmcnt(3)
	v_lshlrev_b16_e32 v2, 8, v2
	s_waitcnt vmcnt(2)
	v_lshlrev_b16_e32 v3, 8, v3
	s_waitcnt vmcnt(1)
	v_or_b32_e32 v2, v4, v2
	s_waitcnt vmcnt(0)
	v_or_b32_sdwa v3, v5, v3 dst_sel:WORD_1 dst_unused:UNUSED_PAD src0_sel:DWORD src1_sel:DWORD
	s_nop 0
	v_or_b32_sdwa v2, v2, v3 dst_sel:DWORD dst_unused:UNUSED_PAD src0_sel:WORD_0 src1_sel:DWORD
	s_branch .LBB58_2
.LBB58_1:                               ;   in Loop: Header=BB58_2 Depth=1
	s_or_b64 exec, exec, s[0:1]
	v_lshrrev_b32_e32 v4, 8, v2
	v_cmp_eq_u16_sdwa s[0:1], v2, v4 src0_sel:BYTE_0 src1_sel:BYTE_0
	v_and_b32_sdwa v6, v2, s3 dst_sel:DWORD dst_unused:UNUSED_PAD src0_sel:WORD_1 src1_sel:DWORD
	s_add_i32 s4, s4, -1
	v_cndmask_b32_e64 v5, 0, 1, s[0:1]
	v_cmp_eq_u16_sdwa s[0:1], v4, v6 src0_sel:BYTE_0 src1_sel:DWORD
	s_cmp_lg_u32 s4, 0
	s_waitcnt lgkmcnt(0)
	v_cndmask_b32_e64 v7, 0, 1, s[0:1]
	v_cmp_eq_u16_sdwa s[0:1], v6, v2 src0_sel:DWORD src1_sel:BYTE_3
	v_add_u16_e32 v4, v4, v7
	s_barrier
	v_cndmask_b32_e64 v6, 0, 1, s[0:1]
	v_cmp_eq_u16_sdwa s[0:1], v2, v3 src0_sel:BYTE_3 src1_sel:BYTE_0
	v_add_u16_e32 v3, v2, v5
	v_add_u16_sdwa v5, v2, v6 dst_sel:DWORD dst_unused:UNUSED_PAD src0_sel:WORD_1 src1_sel:DWORD
	v_cndmask_b32_e64 v8, 0, 1, s[0:1]
	v_add_u16_sdwa v6, v2, v8 dst_sel:DWORD dst_unused:UNUSED_PAD src0_sel:BYTE_3 src1_sel:DWORD
	v_lshlrev_b16_e32 v2, 8, v4
	v_lshlrev_b16_e32 v7, 8, v6
	v_or_b32_sdwa v2, v3, v2 dst_sel:DWORD dst_unused:UNUSED_PAD src0_sel:BYTE_0 src1_sel:DWORD
	v_or_b32_sdwa v7, v5, v7 dst_sel:WORD_1 dst_unused:UNUSED_PAD src0_sel:BYTE_0 src1_sel:DWORD
	s_nop 0
	v_or_b32_sdwa v2, v2, v7 dst_sel:DWORD dst_unused:UNUSED_PAD src0_sel:WORD_0 src1_sel:DWORD
	s_cbranch_scc0 .LBB58_4
.LBB58_2:                               ; =>This Inner Loop Header: Depth=1
	v_mov_b32_e32 v3, 0x7b
	ds_write_b8 v0, v2 offset:256
	s_waitcnt lgkmcnt(0)
	s_barrier
	s_and_saveexec_b64 s[0:1], vcc
	s_cbranch_execz .LBB58_1
; %bb.3:                                ;   in Loop: Header=BB58_2 Depth=1
	ds_read_u8 v3, v0 offset:257
	s_branch .LBB58_1
.LBB58_4:
	s_add_u32 s0, s6, s2
	s_addc_u32 s1, s7, 0
	v_lshl_add_u64 v[0:1], s[0:1], 0, v[0:1]
	global_store_byte v[0:1], v3, off
	global_store_byte v[0:1], v4, off offset:256
	global_store_byte v[0:1], v5, off offset:512
	;; [unrolled: 1-line block ×3, first 2 shown]
	s_endpgm
	.section	.rodata,"a",@progbits
	.p2align	6, 0x0
	.amdhsa_kernel _Z6kernelI10flag_tailsaLj256ELj4ELb1ELj100EEvPKT0_PS1_
		.amdhsa_group_segment_fixed_size 512
		.amdhsa_private_segment_fixed_size 0
		.amdhsa_kernarg_size 16
		.amdhsa_user_sgpr_count 2
		.amdhsa_user_sgpr_dispatch_ptr 0
		.amdhsa_user_sgpr_queue_ptr 0
		.amdhsa_user_sgpr_kernarg_segment_ptr 1
		.amdhsa_user_sgpr_dispatch_id 0
		.amdhsa_user_sgpr_kernarg_preload_length 0
		.amdhsa_user_sgpr_kernarg_preload_offset 0
		.amdhsa_user_sgpr_private_segment_size 0
		.amdhsa_uses_dynamic_stack 0
		.amdhsa_enable_private_segment 0
		.amdhsa_system_sgpr_workgroup_id_x 1
		.amdhsa_system_sgpr_workgroup_id_y 0
		.amdhsa_system_sgpr_workgroup_id_z 0
		.amdhsa_system_sgpr_workgroup_info 0
		.amdhsa_system_vgpr_workitem_id 0
		.amdhsa_next_free_vgpr 9
		.amdhsa_next_free_sgpr 8
		.amdhsa_accum_offset 12
		.amdhsa_reserve_vcc 1
		.amdhsa_float_round_mode_32 0
		.amdhsa_float_round_mode_16_64 0
		.amdhsa_float_denorm_mode_32 3
		.amdhsa_float_denorm_mode_16_64 3
		.amdhsa_dx10_clamp 1
		.amdhsa_ieee_mode 1
		.amdhsa_fp16_overflow 0
		.amdhsa_tg_split 0
		.amdhsa_exception_fp_ieee_invalid_op 0
		.amdhsa_exception_fp_denorm_src 0
		.amdhsa_exception_fp_ieee_div_zero 0
		.amdhsa_exception_fp_ieee_overflow 0
		.amdhsa_exception_fp_ieee_underflow 0
		.amdhsa_exception_fp_ieee_inexact 0
		.amdhsa_exception_int_div_zero 0
	.end_amdhsa_kernel
	.section	.text._Z6kernelI10flag_tailsaLj256ELj4ELb1ELj100EEvPKT0_PS1_,"axG",@progbits,_Z6kernelI10flag_tailsaLj256ELj4ELb1ELj100EEvPKT0_PS1_,comdat
.Lfunc_end58:
	.size	_Z6kernelI10flag_tailsaLj256ELj4ELb1ELj100EEvPKT0_PS1_, .Lfunc_end58-_Z6kernelI10flag_tailsaLj256ELj4ELb1ELj100EEvPKT0_PS1_
                                        ; -- End function
	.section	.AMDGPU.csdata,"",@progbits
; Kernel info:
; codeLenInByte = 380
; NumSgprs: 14
; NumVgprs: 9
; NumAgprs: 0
; TotalNumVgprs: 9
; ScratchSize: 0
; MemoryBound: 0
; FloatMode: 240
; IeeeMode: 1
; LDSByteSize: 512 bytes/workgroup (compile time only)
; SGPRBlocks: 1
; VGPRBlocks: 1
; NumSGPRsForWavesPerEU: 14
; NumVGPRsForWavesPerEU: 9
; AccumOffset: 12
; Occupancy: 8
; WaveLimiterHint : 1
; COMPUTE_PGM_RSRC2:SCRATCH_EN: 0
; COMPUTE_PGM_RSRC2:USER_SGPR: 2
; COMPUTE_PGM_RSRC2:TRAP_HANDLER: 0
; COMPUTE_PGM_RSRC2:TGID_X_EN: 1
; COMPUTE_PGM_RSRC2:TGID_Y_EN: 0
; COMPUTE_PGM_RSRC2:TGID_Z_EN: 0
; COMPUTE_PGM_RSRC2:TIDIG_COMP_CNT: 0
; COMPUTE_PGM_RSRC3_GFX90A:ACCUM_OFFSET: 2
; COMPUTE_PGM_RSRC3_GFX90A:TG_SPLIT: 0
	.section	.text._Z6kernelI10flag_tailsaLj256ELj8ELb1ELj100EEvPKT0_PS1_,"axG",@progbits,_Z6kernelI10flag_tailsaLj256ELj8ELb1ELj100EEvPKT0_PS1_,comdat
	.protected	_Z6kernelI10flag_tailsaLj256ELj8ELb1ELj100EEvPKT0_PS1_ ; -- Begin function _Z6kernelI10flag_tailsaLj256ELj8ELb1ELj100EEvPKT0_PS1_
	.globl	_Z6kernelI10flag_tailsaLj256ELj8ELb1ELj100EEvPKT0_PS1_
	.p2align	8
	.type	_Z6kernelI10flag_tailsaLj256ELj8ELb1ELj100EEvPKT0_PS1_,@function
_Z6kernelI10flag_tailsaLj256ELj8ELb1ELj100EEvPKT0_PS1_: ; @_Z6kernelI10flag_tailsaLj256ELj8ELb1ELj100EEvPKT0_PS1_
; %bb.0:
	s_load_dwordx4 s[4:7], s[0:1], 0x0
	s_lshl_b32 s2, s2, 11
	s_movk_i32 s3, 0xff
	v_mov_b32_e32 v1, 0
	v_cmp_ne_u32_e32 vcc, s3, v0
	s_waitcnt lgkmcnt(0)
	s_add_u32 s0, s4, s2
	s_addc_u32 s1, s5, 0
	global_load_ubyte v2, v0, s[0:1] offset:256
	global_load_ubyte v3, v0, s[0:1] offset:768
	;; [unrolled: 1-line block ×4, first 2 shown]
	global_load_ubyte v6, v0, s[0:1]
	global_load_ubyte v7, v0, s[0:1] offset:512
	global_load_ubyte v8, v0, s[0:1] offset:1024
	;; [unrolled: 1-line block ×3, first 2 shown]
	s_movk_i32 s4, 0x64
	s_waitcnt vmcnt(7)
	v_lshlrev_b16_e32 v2, 8, v2
	s_waitcnt vmcnt(6)
	v_lshlrev_b16_e32 v3, 8, v3
	;; [unrolled: 2-line block ×4, first 2 shown]
	s_waitcnt vmcnt(3)
	v_or_b32_e32 v2, v6, v2
	s_waitcnt vmcnt(2)
	v_or_b32_sdwa v3, v7, v3 dst_sel:WORD_1 dst_unused:UNUSED_PAD src0_sel:DWORD src1_sel:DWORD
	s_waitcnt vmcnt(1)
	v_or_b32_e32 v4, v8, v4
	s_waitcnt vmcnt(0)
	v_or_b32_sdwa v5, v9, v5 dst_sel:WORD_1 dst_unused:UNUSED_PAD src0_sel:DWORD src1_sel:DWORD
	v_or_b32_sdwa v2, v2, v3 dst_sel:DWORD dst_unused:UNUSED_PAD src0_sel:WORD_0 src1_sel:DWORD
	v_or_b32_sdwa v3, v4, v5 dst_sel:DWORD dst_unused:UNUSED_PAD src0_sel:WORD_0 src1_sel:DWORD
	s_branch .LBB59_2
.LBB59_1:                               ;   in Loop: Header=BB59_2 Depth=1
	s_or_b64 exec, exec, s[0:1]
	v_lshrrev_b32_e32 v5, 8, v2
	v_cmp_eq_u16_sdwa s[0:1], v2, v5 src0_sel:BYTE_0 src1_sel:BYTE_0
	v_and_b32_sdwa v7, v2, s3 dst_sel:DWORD dst_unused:UNUSED_PAD src0_sel:WORD_1 src1_sel:DWORD
	v_lshrrev_b64 v[8:9], 24, v[2:3]
	v_cndmask_b32_e64 v6, 0, 1, s[0:1]
	v_cmp_eq_u16_sdwa s[0:1], v5, v7 src0_sel:BYTE_0 src1_sel:DWORD
	v_lshrrev_b32_e32 v11, 8, v3
	v_and_b32_sdwa v13, v3, s3 dst_sel:DWORD dst_unused:UNUSED_PAD src0_sel:WORD_1 src1_sel:DWORD
	v_cndmask_b32_e64 v10, 0, 1, s[0:1]
	v_cmp_eq_u16_sdwa s[0:1], v7, v8 src0_sel:DWORD src1_sel:BYTE_0
	v_add_u16_e32 v5, v5, v10
	s_add_i32 s4, s4, -1
	v_cndmask_b32_e64 v7, 0, 1, s[0:1]
	v_cmp_eq_u16_sdwa s[0:1], v8, v3 src0_sel:BYTE_0 src1_sel:BYTE_0
	s_cmp_lg_u32 s4, 0
	s_waitcnt lgkmcnt(0)
	v_cndmask_b32_e64 v9, 0, 1, s[0:1]
	v_cmp_eq_u16_sdwa s[0:1], v3, v11 src0_sel:BYTE_0 src1_sel:BYTE_0
	s_barrier
	s_nop 0
	v_cndmask_b32_e64 v12, 0, 1, s[0:1]
	v_cmp_eq_u16_sdwa s[0:1], v11, v13 src0_sel:BYTE_0 src1_sel:DWORD
	s_nop 1
	v_cndmask_b32_e64 v14, 0, 1, s[0:1]
	v_cmp_eq_u16_sdwa s[0:1], v13, v3 src0_sel:DWORD src1_sel:BYTE_3
	s_nop 1
	v_cndmask_b32_e64 v13, 0, 1, s[0:1]
	v_cmp_eq_u16_sdwa s[0:1], v3, v4 src0_sel:BYTE_3 src1_sel:BYTE_0
	v_add_u16_e32 v4, v2, v6
	v_add_u16_sdwa v6, v2, v7 dst_sel:DWORD dst_unused:UNUSED_PAD src0_sel:WORD_1 src1_sel:DWORD
	v_cndmask_b32_e64 v15, 0, 1, s[0:1]
	v_add_u16_e32 v7, v8, v9
	v_add_u16_e32 v8, v3, v12
	;; [unrolled: 1-line block ×3, first 2 shown]
	v_add_u16_sdwa v10, v3, v13 dst_sel:DWORD dst_unused:UNUSED_PAD src0_sel:WORD_1 src1_sel:DWORD
	v_add_u16_sdwa v11, v3, v15 dst_sel:DWORD dst_unused:UNUSED_PAD src0_sel:BYTE_3 src1_sel:DWORD
	v_lshlrev_b16_e32 v2, 8, v5
	v_lshlrev_b16_e32 v3, 8, v7
	v_or_b32_sdwa v2, v4, v2 dst_sel:DWORD dst_unused:UNUSED_PAD src0_sel:BYTE_0 src1_sel:DWORD
	v_or_b32_sdwa v3, v6, v3 dst_sel:WORD_1 dst_unused:UNUSED_PAD src0_sel:BYTE_0 src1_sel:DWORD
	v_lshlrev_b16_e32 v12, 8, v11
	v_or_b32_sdwa v2, v2, v3 dst_sel:DWORD dst_unused:UNUSED_PAD src0_sel:WORD_0 src1_sel:DWORD
	v_lshlrev_b16_e32 v3, 8, v9
	v_or_b32_sdwa v3, v8, v3 dst_sel:DWORD dst_unused:UNUSED_PAD src0_sel:BYTE_0 src1_sel:DWORD
	v_or_b32_sdwa v12, v10, v12 dst_sel:WORD_1 dst_unused:UNUSED_PAD src0_sel:BYTE_0 src1_sel:DWORD
	s_nop 0
	v_or_b32_sdwa v3, v3, v12 dst_sel:DWORD dst_unused:UNUSED_PAD src0_sel:WORD_0 src1_sel:DWORD
	s_cbranch_scc0 .LBB59_4
.LBB59_2:                               ; =>This Inner Loop Header: Depth=1
	v_mov_b32_e32 v4, 0x7b
	ds_write_b8 v0, v2 offset:256
	s_waitcnt lgkmcnt(0)
	s_barrier
	s_and_saveexec_b64 s[0:1], vcc
	s_cbranch_execz .LBB59_1
; %bb.3:                                ;   in Loop: Header=BB59_2 Depth=1
	ds_read_u8 v4, v0 offset:257
	s_branch .LBB59_1
.LBB59_4:
	s_add_u32 s0, s6, s2
	s_addc_u32 s1, s7, 0
	v_lshl_add_u64 v[0:1], s[0:1], 0, v[0:1]
	global_store_byte v[0:1], v4, off
	global_store_byte v[0:1], v5, off offset:256
	global_store_byte v[0:1], v6, off offset:512
	;; [unrolled: 1-line block ×7, first 2 shown]
	s_endpgm
	.section	.rodata,"a",@progbits
	.p2align	6, 0x0
	.amdhsa_kernel _Z6kernelI10flag_tailsaLj256ELj8ELb1ELj100EEvPKT0_PS1_
		.amdhsa_group_segment_fixed_size 512
		.amdhsa_private_segment_fixed_size 0
		.amdhsa_kernarg_size 16
		.amdhsa_user_sgpr_count 2
		.amdhsa_user_sgpr_dispatch_ptr 0
		.amdhsa_user_sgpr_queue_ptr 0
		.amdhsa_user_sgpr_kernarg_segment_ptr 1
		.amdhsa_user_sgpr_dispatch_id 0
		.amdhsa_user_sgpr_kernarg_preload_length 0
		.amdhsa_user_sgpr_kernarg_preload_offset 0
		.amdhsa_user_sgpr_private_segment_size 0
		.amdhsa_uses_dynamic_stack 0
		.amdhsa_enable_private_segment 0
		.amdhsa_system_sgpr_workgroup_id_x 1
		.amdhsa_system_sgpr_workgroup_id_y 0
		.amdhsa_system_sgpr_workgroup_id_z 0
		.amdhsa_system_sgpr_workgroup_info 0
		.amdhsa_system_vgpr_workitem_id 0
		.amdhsa_next_free_vgpr 16
		.amdhsa_next_free_sgpr 8
		.amdhsa_accum_offset 16
		.amdhsa_reserve_vcc 1
		.amdhsa_float_round_mode_32 0
		.amdhsa_float_round_mode_16_64 0
		.amdhsa_float_denorm_mode_32 3
		.amdhsa_float_denorm_mode_16_64 3
		.amdhsa_dx10_clamp 1
		.amdhsa_ieee_mode 1
		.amdhsa_fp16_overflow 0
		.amdhsa_tg_split 0
		.amdhsa_exception_fp_ieee_invalid_op 0
		.amdhsa_exception_fp_denorm_src 0
		.amdhsa_exception_fp_ieee_div_zero 0
		.amdhsa_exception_fp_ieee_overflow 0
		.amdhsa_exception_fp_ieee_underflow 0
		.amdhsa_exception_fp_ieee_inexact 0
		.amdhsa_exception_int_div_zero 0
	.end_amdhsa_kernel
	.section	.text._Z6kernelI10flag_tailsaLj256ELj8ELb1ELj100EEvPKT0_PS1_,"axG",@progbits,_Z6kernelI10flag_tailsaLj256ELj8ELb1ELj100EEvPKT0_PS1_,comdat
.Lfunc_end59:
	.size	_Z6kernelI10flag_tailsaLj256ELj8ELb1ELj100EEvPKT0_PS1_, .Lfunc_end59-_Z6kernelI10flag_tailsaLj256ELj8ELb1ELj100EEvPKT0_PS1_
                                        ; -- End function
	.section	.AMDGPU.csdata,"",@progbits
; Kernel info:
; codeLenInByte = 632
; NumSgprs: 14
; NumVgprs: 16
; NumAgprs: 0
; TotalNumVgprs: 16
; ScratchSize: 0
; MemoryBound: 0
; FloatMode: 240
; IeeeMode: 1
; LDSByteSize: 512 bytes/workgroup (compile time only)
; SGPRBlocks: 1
; VGPRBlocks: 1
; NumSGPRsForWavesPerEU: 14
; NumVGPRsForWavesPerEU: 16
; AccumOffset: 16
; Occupancy: 8
; WaveLimiterHint : 1
; COMPUTE_PGM_RSRC2:SCRATCH_EN: 0
; COMPUTE_PGM_RSRC2:USER_SGPR: 2
; COMPUTE_PGM_RSRC2:TRAP_HANDLER: 0
; COMPUTE_PGM_RSRC2:TGID_X_EN: 1
; COMPUTE_PGM_RSRC2:TGID_Y_EN: 0
; COMPUTE_PGM_RSRC2:TGID_Z_EN: 0
; COMPUTE_PGM_RSRC2:TIDIG_COMP_CNT: 0
; COMPUTE_PGM_RSRC3_GFX90A:ACCUM_OFFSET: 3
; COMPUTE_PGM_RSRC3_GFX90A:TG_SPLIT: 0
	.section	.text._Z6kernelI10flag_tailshLj256ELj1ELb0ELj100EEvPKT0_PS1_,"axG",@progbits,_Z6kernelI10flag_tailshLj256ELj1ELb0ELj100EEvPKT0_PS1_,comdat
	.protected	_Z6kernelI10flag_tailshLj256ELj1ELb0ELj100EEvPKT0_PS1_ ; -- Begin function _Z6kernelI10flag_tailshLj256ELj1ELb0ELj100EEvPKT0_PS1_
	.globl	_Z6kernelI10flag_tailshLj256ELj1ELb0ELj100EEvPKT0_PS1_
	.p2align	8
	.type	_Z6kernelI10flag_tailshLj256ELj1ELb0ELj100EEvPKT0_PS1_,@function
_Z6kernelI10flag_tailshLj256ELj1ELb0ELj100EEvPKT0_PS1_: ; @_Z6kernelI10flag_tailshLj256ELj1ELb0ELj100EEvPKT0_PS1_
; %bb.0:
	s_load_dwordx4 s[4:7], s[0:1], 0x0
	s_lshl_b32 s2, s2, 8
	v_mov_b32_e32 v1, 0
	s_movk_i32 s3, 0x64
	s_waitcnt lgkmcnt(0)
	s_add_u32 s0, s4, s2
	s_addc_u32 s1, s5, 0
	global_load_ubyte v2, v0, s[0:1]
	s_movk_i32 s0, 0xff
	v_cmp_ne_u32_e32 vcc, s0, v0
	s_branch .LBB60_2
.LBB60_1:                               ;   in Loop: Header=BB60_2 Depth=1
	s_or_b64 exec, exec, s[0:1]
	s_add_i32 s3, s3, -1
	v_add_u16_e32 v2, v3, v2
	s_cmp_lg_u32 s3, 0
	s_barrier
	s_cbranch_scc0 .LBB60_4
.LBB60_2:                               ; =>This Inner Loop Header: Depth=1
	v_mov_b32_e32 v3, 1
	s_waitcnt vmcnt(0)
	ds_write_b8 v0, v2 offset:256
	s_waitcnt lgkmcnt(0)
	s_barrier
	s_and_saveexec_b64 s[0:1], vcc
	s_cbranch_execz .LBB60_1
; %bb.3:                                ;   in Loop: Header=BB60_2 Depth=1
	ds_read_u8 v3, v0 offset:257
	s_waitcnt lgkmcnt(0)
	v_cmp_eq_u16_sdwa s[4:5], v2, v3 src0_sel:BYTE_0 src1_sel:DWORD
	s_nop 1
	v_cndmask_b32_e64 v3, 0, 1, s[4:5]
	s_branch .LBB60_1
.LBB60_4:
	s_add_u32 s0, s6, s2
	s_addc_u32 s1, s7, 0
	v_lshl_add_u64 v[0:1], s[0:1], 0, v[0:1]
	global_store_byte v[0:1], v2, off
	s_endpgm
	.section	.rodata,"a",@progbits
	.p2align	6, 0x0
	.amdhsa_kernel _Z6kernelI10flag_tailshLj256ELj1ELb0ELj100EEvPKT0_PS1_
		.amdhsa_group_segment_fixed_size 512
		.amdhsa_private_segment_fixed_size 0
		.amdhsa_kernarg_size 16
		.amdhsa_user_sgpr_count 2
		.amdhsa_user_sgpr_dispatch_ptr 0
		.amdhsa_user_sgpr_queue_ptr 0
		.amdhsa_user_sgpr_kernarg_segment_ptr 1
		.amdhsa_user_sgpr_dispatch_id 0
		.amdhsa_user_sgpr_kernarg_preload_length 0
		.amdhsa_user_sgpr_kernarg_preload_offset 0
		.amdhsa_user_sgpr_private_segment_size 0
		.amdhsa_uses_dynamic_stack 0
		.amdhsa_enable_private_segment 0
		.amdhsa_system_sgpr_workgroup_id_x 1
		.amdhsa_system_sgpr_workgroup_id_y 0
		.amdhsa_system_sgpr_workgroup_id_z 0
		.amdhsa_system_sgpr_workgroup_info 0
		.amdhsa_system_vgpr_workitem_id 0
		.amdhsa_next_free_vgpr 4
		.amdhsa_next_free_sgpr 8
		.amdhsa_accum_offset 4
		.amdhsa_reserve_vcc 1
		.amdhsa_float_round_mode_32 0
		.amdhsa_float_round_mode_16_64 0
		.amdhsa_float_denorm_mode_32 3
		.amdhsa_float_denorm_mode_16_64 3
		.amdhsa_dx10_clamp 1
		.amdhsa_ieee_mode 1
		.amdhsa_fp16_overflow 0
		.amdhsa_tg_split 0
		.amdhsa_exception_fp_ieee_invalid_op 0
		.amdhsa_exception_fp_denorm_src 0
		.amdhsa_exception_fp_ieee_div_zero 0
		.amdhsa_exception_fp_ieee_overflow 0
		.amdhsa_exception_fp_ieee_underflow 0
		.amdhsa_exception_fp_ieee_inexact 0
		.amdhsa_exception_int_div_zero 0
	.end_amdhsa_kernel
	.section	.text._Z6kernelI10flag_tailshLj256ELj1ELb0ELj100EEvPKT0_PS1_,"axG",@progbits,_Z6kernelI10flag_tailshLj256ELj1ELb0ELj100EEvPKT0_PS1_,comdat
.Lfunc_end60:
	.size	_Z6kernelI10flag_tailshLj256ELj1ELb0ELj100EEvPKT0_PS1_, .Lfunc_end60-_Z6kernelI10flag_tailshLj256ELj1ELb0ELj100EEvPKT0_PS1_
                                        ; -- End function
	.section	.AMDGPU.csdata,"",@progbits
; Kernel info:
; codeLenInByte = 172
; NumSgprs: 14
; NumVgprs: 4
; NumAgprs: 0
; TotalNumVgprs: 4
; ScratchSize: 0
; MemoryBound: 0
; FloatMode: 240
; IeeeMode: 1
; LDSByteSize: 512 bytes/workgroup (compile time only)
; SGPRBlocks: 1
; VGPRBlocks: 0
; NumSGPRsForWavesPerEU: 14
; NumVGPRsForWavesPerEU: 4
; AccumOffset: 4
; Occupancy: 8
; WaveLimiterHint : 0
; COMPUTE_PGM_RSRC2:SCRATCH_EN: 0
; COMPUTE_PGM_RSRC2:USER_SGPR: 2
; COMPUTE_PGM_RSRC2:TRAP_HANDLER: 0
; COMPUTE_PGM_RSRC2:TGID_X_EN: 1
; COMPUTE_PGM_RSRC2:TGID_Y_EN: 0
; COMPUTE_PGM_RSRC2:TGID_Z_EN: 0
; COMPUTE_PGM_RSRC2:TIDIG_COMP_CNT: 0
; COMPUTE_PGM_RSRC3_GFX90A:ACCUM_OFFSET: 0
; COMPUTE_PGM_RSRC3_GFX90A:TG_SPLIT: 0
	.section	.text._Z6kernelI10flag_tailshLj256ELj2ELb0ELj100EEvPKT0_PS1_,"axG",@progbits,_Z6kernelI10flag_tailshLj256ELj2ELb0ELj100EEvPKT0_PS1_,comdat
	.protected	_Z6kernelI10flag_tailshLj256ELj2ELb0ELj100EEvPKT0_PS1_ ; -- Begin function _Z6kernelI10flag_tailshLj256ELj2ELb0ELj100EEvPKT0_PS1_
	.globl	_Z6kernelI10flag_tailshLj256ELj2ELb0ELj100EEvPKT0_PS1_
	.p2align	8
	.type	_Z6kernelI10flag_tailshLj256ELj2ELb0ELj100EEvPKT0_PS1_,@function
_Z6kernelI10flag_tailshLj256ELj2ELb0ELj100EEvPKT0_PS1_: ; @_Z6kernelI10flag_tailshLj256ELj2ELb0ELj100EEvPKT0_PS1_
; %bb.0:
	s_load_dwordx4 s[4:7], s[0:1], 0x0
	s_lshl_b32 s2, s2, 9
	v_mov_b32_e32 v1, 0
	s_movk_i32 s3, 0x64
	s_waitcnt lgkmcnt(0)
	s_add_u32 s0, s4, s2
	s_addc_u32 s1, s5, 0
	global_load_ubyte v2, v0, s[0:1] offset:256
	global_load_ubyte v3, v0, s[0:1]
	s_movk_i32 s0, 0xff
	v_cmp_ne_u32_e32 vcc, s0, v0
	s_waitcnt vmcnt(1)
	v_lshlrev_b16_e32 v2, 8, v2
	s_waitcnt vmcnt(0)
	v_or_b32_e32 v2, v3, v2
	v_and_b32_e32 v2, 0xffff, v2
	s_branch .LBB61_2
.LBB61_1:                               ;   in Loop: Header=BB61_2 Depth=1
	s_or_b64 exec, exec, s[0:1]
	v_add_u16_e32 v3, v4, v2
	v_lshrrev_b16_e32 v4, 8, v4
	v_add_u16_sdwa v4, v4, v2 dst_sel:DWORD dst_unused:UNUSED_PAD src0_sel:DWORD src1_sel:BYTE_1
	v_lshlrev_b16_e32 v2, 8, v4
	v_or_b32_sdwa v2, v3, v2 dst_sel:DWORD dst_unused:UNUSED_PAD src0_sel:BYTE_0 src1_sel:DWORD
	s_add_i32 s3, s3, -1
	v_and_b32_e32 v2, 0xffff, v2
	s_cmp_lg_u32 s3, 0
	s_barrier
	s_cbranch_scc0 .LBB61_4
.LBB61_2:                               ; =>This Inner Loop Header: Depth=1
	v_cmp_eq_u16_sdwa s[0:1], v2, v2 src0_sel:BYTE_0 src1_sel:BYTE_1
	ds_write_b8 v0, v2 offset:256
	s_waitcnt lgkmcnt(0)
	v_cndmask_b32_e64 v3, 0, 1, s[0:1]
	v_or_b32_e32 v3, 0x100, v3
	v_and_b32_e32 v4, 0xffff, v3
	s_barrier
	s_and_saveexec_b64 s[0:1], vcc
	s_cbranch_execz .LBB61_1
; %bb.3:                                ;   in Loop: Header=BB61_2 Depth=1
	ds_read_u8 v3, v0 offset:257
	s_waitcnt lgkmcnt(0)
	v_cmp_eq_u16_sdwa s[4:5], v2, v3 src0_sel:BYTE_1 src1_sel:DWORD
	s_nop 1
	v_cndmask_b32_e64 v3, 0, 1, s[4:5]
	v_lshlrev_b16_e32 v3, 8, v3
	v_or_b32_sdwa v3, v4, v3 dst_sel:DWORD dst_unused:UNUSED_PAD src0_sel:BYTE_0 src1_sel:DWORD
	v_and_b32_e32 v4, 0xffff, v3
	s_branch .LBB61_1
.LBB61_4:
	s_add_u32 s0, s6, s2
	s_addc_u32 s1, s7, 0
	v_lshl_add_u64 v[0:1], s[0:1], 0, v[0:1]
	global_store_byte v[0:1], v3, off
	global_store_byte v[0:1], v4, off offset:256
	s_endpgm
	.section	.rodata,"a",@progbits
	.p2align	6, 0x0
	.amdhsa_kernel _Z6kernelI10flag_tailshLj256ELj2ELb0ELj100EEvPKT0_PS1_
		.amdhsa_group_segment_fixed_size 512
		.amdhsa_private_segment_fixed_size 0
		.amdhsa_kernarg_size 16
		.amdhsa_user_sgpr_count 2
		.amdhsa_user_sgpr_dispatch_ptr 0
		.amdhsa_user_sgpr_queue_ptr 0
		.amdhsa_user_sgpr_kernarg_segment_ptr 1
		.amdhsa_user_sgpr_dispatch_id 0
		.amdhsa_user_sgpr_kernarg_preload_length 0
		.amdhsa_user_sgpr_kernarg_preload_offset 0
		.amdhsa_user_sgpr_private_segment_size 0
		.amdhsa_uses_dynamic_stack 0
		.amdhsa_enable_private_segment 0
		.amdhsa_system_sgpr_workgroup_id_x 1
		.amdhsa_system_sgpr_workgroup_id_y 0
		.amdhsa_system_sgpr_workgroup_id_z 0
		.amdhsa_system_sgpr_workgroup_info 0
		.amdhsa_system_vgpr_workitem_id 0
		.amdhsa_next_free_vgpr 5
		.amdhsa_next_free_sgpr 8
		.amdhsa_accum_offset 8
		.amdhsa_reserve_vcc 1
		.amdhsa_float_round_mode_32 0
		.amdhsa_float_round_mode_16_64 0
		.amdhsa_float_denorm_mode_32 3
		.amdhsa_float_denorm_mode_16_64 3
		.amdhsa_dx10_clamp 1
		.amdhsa_ieee_mode 1
		.amdhsa_fp16_overflow 0
		.amdhsa_tg_split 0
		.amdhsa_exception_fp_ieee_invalid_op 0
		.amdhsa_exception_fp_denorm_src 0
		.amdhsa_exception_fp_ieee_div_zero 0
		.amdhsa_exception_fp_ieee_overflow 0
		.amdhsa_exception_fp_ieee_underflow 0
		.amdhsa_exception_fp_ieee_inexact 0
		.amdhsa_exception_int_div_zero 0
	.end_amdhsa_kernel
	.section	.text._Z6kernelI10flag_tailshLj256ELj2ELb0ELj100EEvPKT0_PS1_,"axG",@progbits,_Z6kernelI10flag_tailshLj256ELj2ELb0ELj100EEvPKT0_PS1_,comdat
.Lfunc_end61:
	.size	_Z6kernelI10flag_tailshLj256ELj2ELb0ELj100EEvPKT0_PS1_, .Lfunc_end61-_Z6kernelI10flag_tailshLj256ELj2ELb0ELj100EEvPKT0_PS1_
                                        ; -- End function
	.section	.AMDGPU.csdata,"",@progbits
; Kernel info:
; codeLenInByte = 288
; NumSgprs: 14
; NumVgprs: 5
; NumAgprs: 0
; TotalNumVgprs: 5
; ScratchSize: 0
; MemoryBound: 0
; FloatMode: 240
; IeeeMode: 1
; LDSByteSize: 512 bytes/workgroup (compile time only)
; SGPRBlocks: 1
; VGPRBlocks: 0
; NumSGPRsForWavesPerEU: 14
; NumVGPRsForWavesPerEU: 5
; AccumOffset: 8
; Occupancy: 8
; WaveLimiterHint : 1
; COMPUTE_PGM_RSRC2:SCRATCH_EN: 0
; COMPUTE_PGM_RSRC2:USER_SGPR: 2
; COMPUTE_PGM_RSRC2:TRAP_HANDLER: 0
; COMPUTE_PGM_RSRC2:TGID_X_EN: 1
; COMPUTE_PGM_RSRC2:TGID_Y_EN: 0
; COMPUTE_PGM_RSRC2:TGID_Z_EN: 0
; COMPUTE_PGM_RSRC2:TIDIG_COMP_CNT: 0
; COMPUTE_PGM_RSRC3_GFX90A:ACCUM_OFFSET: 1
; COMPUTE_PGM_RSRC3_GFX90A:TG_SPLIT: 0
	.section	.text._Z6kernelI10flag_tailshLj256ELj3ELb0ELj100EEvPKT0_PS1_,"axG",@progbits,_Z6kernelI10flag_tailshLj256ELj3ELb0ELj100EEvPKT0_PS1_,comdat
	.protected	_Z6kernelI10flag_tailshLj256ELj3ELb0ELj100EEvPKT0_PS1_ ; -- Begin function _Z6kernelI10flag_tailshLj256ELj3ELb0ELj100EEvPKT0_PS1_
	.globl	_Z6kernelI10flag_tailshLj256ELj3ELb0ELj100EEvPKT0_PS1_
	.p2align	8
	.type	_Z6kernelI10flag_tailshLj256ELj3ELb0ELj100EEvPKT0_PS1_,@function
_Z6kernelI10flag_tailshLj256ELj3ELb0ELj100EEvPKT0_PS1_: ; @_Z6kernelI10flag_tailshLj256ELj3ELb0ELj100EEvPKT0_PS1_
; %bb.0:
	s_load_dwordx4 s[4:7], s[0:1], 0x0
	s_mul_i32 s8, s2, 0x300
	v_mov_b32_e32 v1, 0
	s_mov_b32 s9, 0x10000
	s_waitcnt lgkmcnt(0)
	s_add_u32 s0, s4, s8
	s_addc_u32 s1, s5, 0
	global_load_ubyte v2, v0, s[0:1] offset:256
	global_load_ubyte v3, v0, s[0:1]
	global_load_ubyte v4, v0, s[0:1] offset:512
	s_movk_i32 s4, 0xff
	s_movk_i32 s5, 0x64
	v_cmp_ne_u32_e32 vcc, s4, v0
	s_waitcnt vmcnt(2)
	v_lshlrev_b16_e32 v2, 8, v2
	s_waitcnt vmcnt(1)
	v_or_b32_e32 v2, v3, v2
	v_and_b32_e32 v2, 0xffff, v2
	s_waitcnt vmcnt(0)
	v_lshl_or_b32 v3, v4, 16, v2
	v_mov_b32_e32 v2, 8
	s_branch .LBB62_2
.LBB62_1:                               ;   in Loop: Header=BB62_2 Depth=1
	s_or_b64 exec, exec, s[2:3]
	v_lshrrev_b32_e32 v7, 16, v6
	v_add_u16_e32 v5, v6, v3
	v_lshrrev_b32_e32 v6, 8, v6
	v_add_u16_e32 v4, v6, v4
	v_add_u16_sdwa v6, v7, v3 dst_sel:DWORD dst_unused:UNUSED_PAD src0_sel:DWORD src1_sel:WORD_1
	v_lshlrev_b16_e32 v3, 8, v4
	v_and_b32_e32 v7, 0xff, v6
	v_or_b32_sdwa v3, v5, v3 dst_sel:DWORD dst_unused:UNUSED_PAD src0_sel:BYTE_0 src1_sel:DWORD
	v_lshlrev_b32_e32 v7, 16, v7
	s_add_i32 s5, s5, -1
	v_or_b32_sdwa v3, v3, v7 dst_sel:DWORD dst_unused:UNUSED_PAD src0_sel:WORD_0 src1_sel:DWORD
	s_cmp_lg_u32 s5, 0
	s_barrier
	s_cbranch_scc0 .LBB62_4
.LBB62_2:                               ; =>This Inner Loop Header: Depth=1
	v_lshrrev_b32_e32 v4, 8, v3
	v_cmp_eq_u16_sdwa s[0:1], v3, v4 src0_sel:BYTE_0 src1_sel:BYTE_0
	v_and_b32_sdwa v5, v3, s4 dst_sel:DWORD dst_unused:UNUSED_PAD src0_sel:WORD_1 src1_sel:DWORD
	ds_write_b8 v0, v3 offset:256
	v_cndmask_b32_e64 v6, 0, 1, s[0:1]
	v_cmp_eq_u16_sdwa s[0:1], v4, v5 src0_sel:BYTE_0 src1_sel:DWORD
	s_waitcnt lgkmcnt(0)
	s_barrier
	v_cndmask_b32_e64 v7, 0, 1, s[0:1]
	v_lshlrev_b16_e32 v7, 8, v7
	v_or_b32_e32 v6, v6, v7
	v_or_b32_sdwa v6, v6, s9 dst_sel:DWORD dst_unused:UNUSED_PAD src0_sel:WORD_0 src1_sel:DWORD
	s_and_saveexec_b64 s[2:3], vcc
	s_cbranch_execz .LBB62_1
; %bb.3:                                ;   in Loop: Header=BB62_2 Depth=1
	ds_read_u8 v7, v0 offset:257
	v_lshrrev_b32_sdwa v8, v2, v6 dst_sel:BYTE_1 dst_unused:UNUSED_PAD src0_sel:DWORD src1_sel:DWORD
	s_waitcnt lgkmcnt(0)
	v_cmp_eq_u16_e64 s[0:1], v5, v7
	v_or_b32_sdwa v6, v6, v8 dst_sel:DWORD dst_unused:UNUSED_PAD src0_sel:BYTE_0 src1_sel:DWORD
	v_and_b32_e32 v6, 0xffff, v6
	v_cndmask_b32_e64 v5, 0, 1, s[0:1]
	v_lshl_or_b32 v6, v5, 16, v6
	s_branch .LBB62_1
.LBB62_4:
	s_add_u32 s0, s6, s8
	s_addc_u32 s1, s7, 0
	v_lshl_add_u64 v[0:1], s[0:1], 0, v[0:1]
	global_store_byte v[0:1], v5, off
	global_store_byte v[0:1], v4, off offset:256
	global_store_byte v[0:1], v6, off offset:512
	s_endpgm
	.section	.rodata,"a",@progbits
	.p2align	6, 0x0
	.amdhsa_kernel _Z6kernelI10flag_tailshLj256ELj3ELb0ELj100EEvPKT0_PS1_
		.amdhsa_group_segment_fixed_size 512
		.amdhsa_private_segment_fixed_size 0
		.amdhsa_kernarg_size 16
		.amdhsa_user_sgpr_count 2
		.amdhsa_user_sgpr_dispatch_ptr 0
		.amdhsa_user_sgpr_queue_ptr 0
		.amdhsa_user_sgpr_kernarg_segment_ptr 1
		.amdhsa_user_sgpr_dispatch_id 0
		.amdhsa_user_sgpr_kernarg_preload_length 0
		.amdhsa_user_sgpr_kernarg_preload_offset 0
		.amdhsa_user_sgpr_private_segment_size 0
		.amdhsa_uses_dynamic_stack 0
		.amdhsa_enable_private_segment 0
		.amdhsa_system_sgpr_workgroup_id_x 1
		.amdhsa_system_sgpr_workgroup_id_y 0
		.amdhsa_system_sgpr_workgroup_id_z 0
		.amdhsa_system_sgpr_workgroup_info 0
		.amdhsa_system_vgpr_workitem_id 0
		.amdhsa_next_free_vgpr 9
		.amdhsa_next_free_sgpr 10
		.amdhsa_accum_offset 12
		.amdhsa_reserve_vcc 1
		.amdhsa_float_round_mode_32 0
		.amdhsa_float_round_mode_16_64 0
		.amdhsa_float_denorm_mode_32 3
		.amdhsa_float_denorm_mode_16_64 3
		.amdhsa_dx10_clamp 1
		.amdhsa_ieee_mode 1
		.amdhsa_fp16_overflow 0
		.amdhsa_tg_split 0
		.amdhsa_exception_fp_ieee_invalid_op 0
		.amdhsa_exception_fp_denorm_src 0
		.amdhsa_exception_fp_ieee_div_zero 0
		.amdhsa_exception_fp_ieee_overflow 0
		.amdhsa_exception_fp_ieee_underflow 0
		.amdhsa_exception_fp_ieee_inexact 0
		.amdhsa_exception_int_div_zero 0
	.end_amdhsa_kernel
	.section	.text._Z6kernelI10flag_tailshLj256ELj3ELb0ELj100EEvPKT0_PS1_,"axG",@progbits,_Z6kernelI10flag_tailshLj256ELj3ELb0ELj100EEvPKT0_PS1_,comdat
.Lfunc_end62:
	.size	_Z6kernelI10flag_tailshLj256ELj3ELb0ELj100EEvPKT0_PS1_, .Lfunc_end62-_Z6kernelI10flag_tailshLj256ELj3ELb0ELj100EEvPKT0_PS1_
                                        ; -- End function
	.section	.AMDGPU.csdata,"",@progbits
; Kernel info:
; codeLenInByte = 388
; NumSgprs: 16
; NumVgprs: 9
; NumAgprs: 0
; TotalNumVgprs: 9
; ScratchSize: 0
; MemoryBound: 0
; FloatMode: 240
; IeeeMode: 1
; LDSByteSize: 512 bytes/workgroup (compile time only)
; SGPRBlocks: 1
; VGPRBlocks: 1
; NumSGPRsForWavesPerEU: 16
; NumVGPRsForWavesPerEU: 9
; AccumOffset: 12
; Occupancy: 8
; WaveLimiterHint : 1
; COMPUTE_PGM_RSRC2:SCRATCH_EN: 0
; COMPUTE_PGM_RSRC2:USER_SGPR: 2
; COMPUTE_PGM_RSRC2:TRAP_HANDLER: 0
; COMPUTE_PGM_RSRC2:TGID_X_EN: 1
; COMPUTE_PGM_RSRC2:TGID_Y_EN: 0
; COMPUTE_PGM_RSRC2:TGID_Z_EN: 0
; COMPUTE_PGM_RSRC2:TIDIG_COMP_CNT: 0
; COMPUTE_PGM_RSRC3_GFX90A:ACCUM_OFFSET: 2
; COMPUTE_PGM_RSRC3_GFX90A:TG_SPLIT: 0
	.section	.text._Z6kernelI10flag_tailshLj256ELj4ELb0ELj100EEvPKT0_PS1_,"axG",@progbits,_Z6kernelI10flag_tailshLj256ELj4ELb0ELj100EEvPKT0_PS1_,comdat
	.protected	_Z6kernelI10flag_tailshLj256ELj4ELb0ELj100EEvPKT0_PS1_ ; -- Begin function _Z6kernelI10flag_tailshLj256ELj4ELb0ELj100EEvPKT0_PS1_
	.globl	_Z6kernelI10flag_tailshLj256ELj4ELb0ELj100EEvPKT0_PS1_
	.p2align	8
	.type	_Z6kernelI10flag_tailshLj256ELj4ELb0ELj100EEvPKT0_PS1_,@function
_Z6kernelI10flag_tailshLj256ELj4ELb0ELj100EEvPKT0_PS1_: ; @_Z6kernelI10flag_tailshLj256ELj4ELb0ELj100EEvPKT0_PS1_
; %bb.0:
	s_load_dwordx4 s[4:7], s[0:1], 0x0
	s_lshl_b32 s2, s2, 10
	v_mov_b32_e32 v1, 0
	s_mov_b32 s3, 0xffff
	s_movk_i32 s8, 0x100
	s_waitcnt lgkmcnt(0)
	s_add_u32 s0, s4, s2
	s_addc_u32 s1, s5, 0
	global_load_ubyte v2, v0, s[0:1] offset:256
	global_load_ubyte v3, v0, s[0:1] offset:768
	global_load_ubyte v4, v0, s[0:1]
	global_load_ubyte v5, v0, s[0:1] offset:512
	s_movk_i32 s4, 0xff
	s_movk_i32 s5, 0x64
	v_cmp_ne_u32_e32 vcc, s4, v0
	s_waitcnt vmcnt(3)
	v_lshlrev_b16_e32 v2, 8, v2
	s_waitcnt vmcnt(2)
	v_lshlrev_b16_e32 v3, 8, v3
	s_waitcnt vmcnt(1)
	v_or_b32_e32 v2, v4, v2
	s_waitcnt vmcnt(0)
	v_or_b32_sdwa v3, v5, v3 dst_sel:WORD_1 dst_unused:UNUSED_PAD src0_sel:DWORD src1_sel:DWORD
	s_nop 0
	v_or_b32_sdwa v2, v2, v3 dst_sel:DWORD dst_unused:UNUSED_PAD src0_sel:WORD_0 src1_sel:DWORD
	s_branch .LBB63_2
.LBB63_1:                               ;   in Loop: Header=BB63_2 Depth=1
	s_or_b64 exec, exec, s[0:1]
	v_lshrrev_b32_e32 v5, 16, v6
	v_add_u16_e32 v4, v6, v2
	v_lshrrev_b32_e32 v7, 8, v6
	v_lshrrev_b32_e32 v6, 24, v6
	v_add_u16_e32 v3, v7, v3
	v_add_u16_sdwa v6, v6, v2 dst_sel:DWORD dst_unused:UNUSED_PAD src0_sel:DWORD src1_sel:BYTE_3
	v_add_u16_sdwa v5, v5, v2 dst_sel:DWORD dst_unused:UNUSED_PAD src0_sel:DWORD src1_sel:WORD_1
	v_lshlrev_b16_e32 v2, 8, v3
	v_lshlrev_b16_e32 v7, 8, v6
	v_or_b32_sdwa v2, v4, v2 dst_sel:DWORD dst_unused:UNUSED_PAD src0_sel:BYTE_0 src1_sel:DWORD
	v_or_b32_sdwa v7, v5, v7 dst_sel:WORD_1 dst_unused:UNUSED_PAD src0_sel:BYTE_0 src1_sel:DWORD
	s_add_i32 s5, s5, -1
	v_or_b32_sdwa v2, v2, v7 dst_sel:DWORD dst_unused:UNUSED_PAD src0_sel:WORD_0 src1_sel:DWORD
	s_cmp_lg_u32 s5, 0
	s_barrier
	s_cbranch_scc0 .LBB63_4
.LBB63_2:                               ; =>This Inner Loop Header: Depth=1
	v_lshrrev_b32_e32 v3, 8, v2
	v_cmp_eq_u16_sdwa s[0:1], v2, v3 src0_sel:BYTE_0 src1_sel:BYTE_0
	v_and_b32_sdwa v5, v2, s4 dst_sel:DWORD dst_unused:UNUSED_PAD src0_sel:WORD_1 src1_sel:DWORD
	ds_write_b8 v0, v2 offset:256
	v_cndmask_b32_e64 v4, 0, 1, s[0:1]
	v_cmp_eq_u16_sdwa s[0:1], v3, v5 src0_sel:BYTE_0 src1_sel:DWORD
	s_waitcnt lgkmcnt(0)
	s_barrier
	v_cndmask_b32_e64 v6, 0, 1, s[0:1]
	v_cmp_eq_u16_sdwa s[0:1], v5, v2 src0_sel:DWORD src1_sel:BYTE_3
	v_lshlrev_b16_e32 v6, 8, v6
	v_or_b32_e32 v4, v4, v6
	v_cndmask_b32_e64 v5, 0, 1, s[0:1]
	v_or_b32_sdwa v5, v5, s8 dst_sel:WORD_1 dst_unused:UNUSED_PAD src0_sel:DWORD src1_sel:DWORD
	s_nop 0
	v_or_b32_sdwa v6, v4, v5 dst_sel:DWORD dst_unused:UNUSED_PAD src0_sel:WORD_0 src1_sel:DWORD
	s_and_saveexec_b64 s[0:1], vcc
	s_cbranch_execz .LBB63_1
; %bb.3:                                ;   in Loop: Header=BB63_2 Depth=1
	ds_read_u8 v4, v0 offset:257
	v_and_b32_sdwa v5, v6, s4 dst_sel:DWORD dst_unused:UNUSED_PAD src0_sel:WORD_1 src1_sel:DWORD
	s_waitcnt lgkmcnt(0)
	v_cmp_eq_u16_sdwa s[10:11], v2, v4 src0_sel:BYTE_3 src1_sel:DWORD
	s_nop 1
	v_cndmask_b32_e64 v4, 0, 1, s[10:11]
	v_lshlrev_b16_e32 v4, 8, v4
	v_or_b32_sdwa v4, v5, v4 dst_sel:WORD_1 dst_unused:UNUSED_PAD src0_sel:DWORD src1_sel:DWORD
	s_nop 0
	v_and_or_b32 v6, v6, s3, v4
	s_branch .LBB63_1
.LBB63_4:
	s_add_u32 s0, s6, s2
	s_addc_u32 s1, s7, 0
	v_lshl_add_u64 v[0:1], s[0:1], 0, v[0:1]
	global_store_byte v[0:1], v4, off
	global_store_byte v[0:1], v3, off offset:256
	global_store_byte v[0:1], v5, off offset:512
	;; [unrolled: 1-line block ×3, first 2 shown]
	s_endpgm
	.section	.rodata,"a",@progbits
	.p2align	6, 0x0
	.amdhsa_kernel _Z6kernelI10flag_tailshLj256ELj4ELb0ELj100EEvPKT0_PS1_
		.amdhsa_group_segment_fixed_size 512
		.amdhsa_private_segment_fixed_size 0
		.amdhsa_kernarg_size 16
		.amdhsa_user_sgpr_count 2
		.amdhsa_user_sgpr_dispatch_ptr 0
		.amdhsa_user_sgpr_queue_ptr 0
		.amdhsa_user_sgpr_kernarg_segment_ptr 1
		.amdhsa_user_sgpr_dispatch_id 0
		.amdhsa_user_sgpr_kernarg_preload_length 0
		.amdhsa_user_sgpr_kernarg_preload_offset 0
		.amdhsa_user_sgpr_private_segment_size 0
		.amdhsa_uses_dynamic_stack 0
		.amdhsa_enable_private_segment 0
		.amdhsa_system_sgpr_workgroup_id_x 1
		.amdhsa_system_sgpr_workgroup_id_y 0
		.amdhsa_system_sgpr_workgroup_id_z 0
		.amdhsa_system_sgpr_workgroup_info 0
		.amdhsa_system_vgpr_workitem_id 0
		.amdhsa_next_free_vgpr 8
		.amdhsa_next_free_sgpr 12
		.amdhsa_accum_offset 8
		.amdhsa_reserve_vcc 1
		.amdhsa_float_round_mode_32 0
		.amdhsa_float_round_mode_16_64 0
		.amdhsa_float_denorm_mode_32 3
		.amdhsa_float_denorm_mode_16_64 3
		.amdhsa_dx10_clamp 1
		.amdhsa_ieee_mode 1
		.amdhsa_fp16_overflow 0
		.amdhsa_tg_split 0
		.amdhsa_exception_fp_ieee_invalid_op 0
		.amdhsa_exception_fp_denorm_src 0
		.amdhsa_exception_fp_ieee_div_zero 0
		.amdhsa_exception_fp_ieee_overflow 0
		.amdhsa_exception_fp_ieee_underflow 0
		.amdhsa_exception_fp_ieee_inexact 0
		.amdhsa_exception_int_div_zero 0
	.end_amdhsa_kernel
	.section	.text._Z6kernelI10flag_tailshLj256ELj4ELb0ELj100EEvPKT0_PS1_,"axG",@progbits,_Z6kernelI10flag_tailshLj256ELj4ELb0ELj100EEvPKT0_PS1_,comdat
.Lfunc_end63:
	.size	_Z6kernelI10flag_tailshLj256ELj4ELb0ELj100EEvPKT0_PS1_, .Lfunc_end63-_Z6kernelI10flag_tailshLj256ELj4ELb0ELj100EEvPKT0_PS1_
                                        ; -- End function
	.section	.AMDGPU.csdata,"",@progbits
; Kernel info:
; codeLenInByte = 456
; NumSgprs: 18
; NumVgprs: 8
; NumAgprs: 0
; TotalNumVgprs: 8
; ScratchSize: 0
; MemoryBound: 0
; FloatMode: 240
; IeeeMode: 1
; LDSByteSize: 512 bytes/workgroup (compile time only)
; SGPRBlocks: 2
; VGPRBlocks: 0
; NumSGPRsForWavesPerEU: 18
; NumVGPRsForWavesPerEU: 8
; AccumOffset: 8
; Occupancy: 8
; WaveLimiterHint : 1
; COMPUTE_PGM_RSRC2:SCRATCH_EN: 0
; COMPUTE_PGM_RSRC2:USER_SGPR: 2
; COMPUTE_PGM_RSRC2:TRAP_HANDLER: 0
; COMPUTE_PGM_RSRC2:TGID_X_EN: 1
; COMPUTE_PGM_RSRC2:TGID_Y_EN: 0
; COMPUTE_PGM_RSRC2:TGID_Z_EN: 0
; COMPUTE_PGM_RSRC2:TIDIG_COMP_CNT: 0
; COMPUTE_PGM_RSRC3_GFX90A:ACCUM_OFFSET: 1
; COMPUTE_PGM_RSRC3_GFX90A:TG_SPLIT: 0
	.section	.text._Z6kernelI10flag_tailshLj256ELj8ELb0ELj100EEvPKT0_PS1_,"axG",@progbits,_Z6kernelI10flag_tailshLj256ELj8ELb0ELj100EEvPKT0_PS1_,comdat
	.protected	_Z6kernelI10flag_tailshLj256ELj8ELb0ELj100EEvPKT0_PS1_ ; -- Begin function _Z6kernelI10flag_tailshLj256ELj8ELb0ELj100EEvPKT0_PS1_
	.globl	_Z6kernelI10flag_tailshLj256ELj8ELb0ELj100EEvPKT0_PS1_
	.p2align	8
	.type	_Z6kernelI10flag_tailshLj256ELj8ELb0ELj100EEvPKT0_PS1_,@function
_Z6kernelI10flag_tailshLj256ELj8ELb0ELj100EEvPKT0_PS1_: ; @_Z6kernelI10flag_tailshLj256ELj8ELb0ELj100EEvPKT0_PS1_
; %bb.0:
	s_load_dwordx4 s[4:7], s[0:1], 0x0
	s_lshl_b32 s2, s2, 11
	s_movk_i32 s3, 0xff
	v_mov_b32_e32 v1, 0
	s_mov_b32 s8, 0x3020104
	s_waitcnt lgkmcnt(0)
	s_add_u32 s0, s4, s2
	s_addc_u32 s1, s5, 0
	global_load_ubyte v2, v0, s[0:1] offset:256
	global_load_ubyte v3, v0, s[0:1] offset:768
	;; [unrolled: 1-line block ×4, first 2 shown]
	global_load_ubyte v6, v0, s[0:1]
	global_load_ubyte v7, v0, s[0:1] offset:512
	global_load_ubyte v8, v0, s[0:1] offset:1024
	global_load_ubyte v9, v0, s[0:1] offset:1536
	s_movk_i32 s4, 0x64
	s_movk_i32 s5, 0x100
	v_cmp_ne_u32_e32 vcc, s3, v0
	s_waitcnt vmcnt(7)
	v_lshlrev_b16_e32 v2, 8, v2
	s_waitcnt vmcnt(6)
	v_lshlrev_b16_e32 v3, 8, v3
	;; [unrolled: 2-line block ×4, first 2 shown]
	s_waitcnt vmcnt(3)
	v_or_b32_e32 v2, v6, v2
	s_waitcnt vmcnt(2)
	v_or_b32_sdwa v3, v7, v3 dst_sel:WORD_1 dst_unused:UNUSED_PAD src0_sel:DWORD src1_sel:DWORD
	s_waitcnt vmcnt(1)
	v_or_b32_e32 v4, v8, v4
	s_waitcnt vmcnt(0)
	v_or_b32_sdwa v5, v9, v5 dst_sel:WORD_1 dst_unused:UNUSED_PAD src0_sel:DWORD src1_sel:DWORD
	v_or_b32_sdwa v2, v2, v3 dst_sel:DWORD dst_unused:UNUSED_PAD src0_sel:WORD_0 src1_sel:DWORD
	v_or_b32_sdwa v3, v4, v5 dst_sel:DWORD dst_unused:UNUSED_PAD src0_sel:WORD_0 src1_sel:DWORD
	v_mov_b32_e32 v6, 8
	s_branch .LBB64_2
.LBB64_1:                               ;   in Loop: Header=BB64_2 Depth=1
	s_or_b64 exec, exec, s[0:1]
	v_lshrrev_b32_e32 v10, 8, v9
	v_add_u16_e32 v8, v10, v8
	v_lshrrev_b32_e32 v10, 16, v9
	v_lshrrev_b32_e32 v11, 16, v12
	v_add_u16_e32 v5, v9, v2
	v_add_u16_sdwa v10, v10, v2 dst_sel:DWORD dst_unused:UNUSED_PAD src0_sel:DWORD src1_sel:WORD_1
	v_add_u16_sdwa v4, v9, v4 dst_sel:DWORD dst_unused:UNUSED_PAD src0_sel:BYTE_3 src1_sel:DWORD
	v_lshrrev_b32_e32 v2, 24, v12
	v_lshrrev_b32_e32 v13, 8, v12
	v_add_u16_e32 v9, v12, v3
	v_add_u16_sdwa v11, v11, v3 dst_sel:DWORD dst_unused:UNUSED_PAD src0_sel:DWORD src1_sel:WORD_1
	v_add_u16_sdwa v12, v2, v3 dst_sel:DWORD dst_unused:UNUSED_PAD src0_sel:DWORD src1_sel:BYTE_3
	v_lshlrev_b16_e32 v2, 8, v8
	v_lshlrev_b16_e32 v3, 8, v4
	v_add_u16_e32 v7, v13, v7
	v_or_b32_sdwa v2, v5, v2 dst_sel:DWORD dst_unused:UNUSED_PAD src0_sel:BYTE_0 src1_sel:DWORD
	v_or_b32_sdwa v3, v10, v3 dst_sel:WORD_1 dst_unused:UNUSED_PAD src0_sel:BYTE_0 src1_sel:DWORD
	v_lshlrev_b16_e32 v13, 8, v12
	v_or_b32_sdwa v2, v2, v3 dst_sel:DWORD dst_unused:UNUSED_PAD src0_sel:WORD_0 src1_sel:DWORD
	v_lshlrev_b16_e32 v3, 8, v7
	v_or_b32_sdwa v3, v9, v3 dst_sel:DWORD dst_unused:UNUSED_PAD src0_sel:BYTE_0 src1_sel:DWORD
	v_or_b32_sdwa v13, v11, v13 dst_sel:WORD_1 dst_unused:UNUSED_PAD src0_sel:BYTE_0 src1_sel:DWORD
	s_add_i32 s4, s4, -1
	s_cmp_lg_u32 s4, 0
	v_or_b32_sdwa v3, v3, v13 dst_sel:DWORD dst_unused:UNUSED_PAD src0_sel:WORD_0 src1_sel:DWORD
	s_barrier
	s_cbranch_scc0 .LBB64_4
.LBB64_2:                               ; =>This Inner Loop Header: Depth=1
	v_lshrrev_b32_e32 v8, 8, v2
	v_cmp_eq_u16_sdwa s[0:1], v2, v8 src0_sel:BYTE_0 src1_sel:BYTE_0
	v_and_b32_sdwa v10, v2, s3 dst_sel:DWORD dst_unused:UNUSED_PAD src0_sel:WORD_1 src1_sel:DWORD
	v_lshrrev_b64 v[4:5], 24, v[2:3]
	v_cndmask_b32_e64 v9, 0, 1, s[0:1]
	v_cmp_eq_u16_sdwa s[0:1], v8, v10 src0_sel:BYTE_0 src1_sel:DWORD
	v_lshrrev_b32_e32 v7, 8, v3
	v_and_b32_sdwa v13, v3, s3 dst_sel:DWORD dst_unused:UNUSED_PAD src0_sel:WORD_1 src1_sel:DWORD
	v_cndmask_b32_e64 v11, 0, 1, s[0:1]
	v_cmp_eq_u16_sdwa s[0:1], v10, v4 src0_sel:DWORD src1_sel:BYTE_0
	v_lshlrev_b16_e32 v11, 8, v11
	v_or_b32_e32 v9, v9, v11
	v_cndmask_b32_e64 v5, 0, 1, s[0:1]
	v_cmp_eq_u16_sdwa s[0:1], v4, v3 src0_sel:BYTE_0 src1_sel:BYTE_0
	ds_write_b8 v0, v2 offset:256
	s_waitcnt lgkmcnt(0)
	v_cndmask_b32_e64 v10, 0, 1, s[0:1]
	v_cmp_eq_u16_sdwa s[0:1], v3, v7 src0_sel:BYTE_0 src1_sel:BYTE_0
	v_lshlrev_b16_e32 v10, 8, v10
	v_or_b32_sdwa v5, v5, v10 dst_sel:WORD_1 dst_unused:UNUSED_PAD src0_sel:DWORD src1_sel:DWORD
	v_cndmask_b32_e64 v12, 0, 1, s[0:1]
	v_cmp_eq_u16_sdwa s[0:1], v7, v13 src0_sel:BYTE_0 src1_sel:DWORD
	v_or_b32_sdwa v9, v9, v5 dst_sel:DWORD dst_unused:UNUSED_PAD src0_sel:WORD_0 src1_sel:DWORD
	s_barrier
	v_cndmask_b32_e64 v14, 0, 1, s[0:1]
	v_cmp_eq_u16_sdwa s[0:1], v13, v3 src0_sel:DWORD src1_sel:BYTE_3
	v_lshlrev_b16_e32 v5, 8, v14
	v_or_b32_e32 v5, v12, v5
	v_cndmask_b32_e64 v13, 0, 1, s[0:1]
	v_or_b32_sdwa v10, v13, s5 dst_sel:WORD_1 dst_unused:UNUSED_PAD src0_sel:DWORD src1_sel:DWORD
	s_nop 0
	v_or_b32_sdwa v12, v5, v10 dst_sel:DWORD dst_unused:UNUSED_PAD src0_sel:WORD_0 src1_sel:DWORD
	s_and_saveexec_b64 s[0:1], vcc
	s_cbranch_execz .LBB64_1
; %bb.3:                                ;   in Loop: Header=BB64_2 Depth=1
	ds_read_u8 v5, v0 offset:257
	v_lshrrev_b32_sdwa v10, v6, v12 dst_sel:BYTE_1 dst_unused:UNUSED_PAD src0_sel:DWORD src1_sel:DWORD
	v_and_b32_sdwa v11, v12, s3 dst_sel:DWORD dst_unused:UNUSED_PAD src0_sel:WORD_1 src1_sel:DWORD
	v_or_b32_sdwa v10, v12, v10 dst_sel:DWORD dst_unused:UNUSED_PAD src0_sel:BYTE_0 src1_sel:DWORD
	v_perm_b32 v9, v9, v9, s8
	s_waitcnt lgkmcnt(0)
	v_cmp_eq_u16_sdwa s[10:11], v3, v5 src0_sel:BYTE_3 src1_sel:DWORD
	s_nop 1
	v_cndmask_b32_e64 v5, 0, 1, s[10:11]
	v_lshlrev_b16_e32 v5, 8, v5
	v_or_b32_sdwa v5, v11, v5 dst_sel:WORD_1 dst_unused:UNUSED_PAD src0_sel:DWORD src1_sel:DWORD
	s_nop 0
	v_or_b32_sdwa v12, v10, v5 dst_sel:DWORD dst_unused:UNUSED_PAD src0_sel:WORD_0 src1_sel:DWORD
	s_branch .LBB64_1
.LBB64_4:
	s_add_u32 s0, s6, s2
	s_addc_u32 s1, s7, 0
	v_lshl_add_u64 v[0:1], s[0:1], 0, v[0:1]
	global_store_byte v[0:1], v5, off
	global_store_byte v[0:1], v8, off offset:256
	global_store_byte v[0:1], v10, off offset:512
	;; [unrolled: 1-line block ×7, first 2 shown]
	s_endpgm
	.section	.rodata,"a",@progbits
	.p2align	6, 0x0
	.amdhsa_kernel _Z6kernelI10flag_tailshLj256ELj8ELb0ELj100EEvPKT0_PS1_
		.amdhsa_group_segment_fixed_size 512
		.amdhsa_private_segment_fixed_size 0
		.amdhsa_kernarg_size 16
		.amdhsa_user_sgpr_count 2
		.amdhsa_user_sgpr_dispatch_ptr 0
		.amdhsa_user_sgpr_queue_ptr 0
		.amdhsa_user_sgpr_kernarg_segment_ptr 1
		.amdhsa_user_sgpr_dispatch_id 0
		.amdhsa_user_sgpr_kernarg_preload_length 0
		.amdhsa_user_sgpr_kernarg_preload_offset 0
		.amdhsa_user_sgpr_private_segment_size 0
		.amdhsa_uses_dynamic_stack 0
		.amdhsa_enable_private_segment 0
		.amdhsa_system_sgpr_workgroup_id_x 1
		.amdhsa_system_sgpr_workgroup_id_y 0
		.amdhsa_system_sgpr_workgroup_id_z 0
		.amdhsa_system_sgpr_workgroup_info 0
		.amdhsa_system_vgpr_workitem_id 0
		.amdhsa_next_free_vgpr 15
		.amdhsa_next_free_sgpr 12
		.amdhsa_accum_offset 16
		.amdhsa_reserve_vcc 1
		.amdhsa_float_round_mode_32 0
		.amdhsa_float_round_mode_16_64 0
		.amdhsa_float_denorm_mode_32 3
		.amdhsa_float_denorm_mode_16_64 3
		.amdhsa_dx10_clamp 1
		.amdhsa_ieee_mode 1
		.amdhsa_fp16_overflow 0
		.amdhsa_tg_split 0
		.amdhsa_exception_fp_ieee_invalid_op 0
		.amdhsa_exception_fp_denorm_src 0
		.amdhsa_exception_fp_ieee_div_zero 0
		.amdhsa_exception_fp_ieee_overflow 0
		.amdhsa_exception_fp_ieee_underflow 0
		.amdhsa_exception_fp_ieee_inexact 0
		.amdhsa_exception_int_div_zero 0
	.end_amdhsa_kernel
	.section	.text._Z6kernelI10flag_tailshLj256ELj8ELb0ELj100EEvPKT0_PS1_,"axG",@progbits,_Z6kernelI10flag_tailshLj256ELj8ELb0ELj100EEvPKT0_PS1_,comdat
.Lfunc_end64:
	.size	_Z6kernelI10flag_tailshLj256ELj8ELb0ELj100EEvPKT0_PS1_, .Lfunc_end64-_Z6kernelI10flag_tailshLj256ELj8ELb0ELj100EEvPKT0_PS1_
                                        ; -- End function
	.section	.AMDGPU.csdata,"",@progbits
; Kernel info:
; codeLenInByte = 764
; NumSgprs: 18
; NumVgprs: 15
; NumAgprs: 0
; TotalNumVgprs: 15
; ScratchSize: 0
; MemoryBound: 0
; FloatMode: 240
; IeeeMode: 1
; LDSByteSize: 512 bytes/workgroup (compile time only)
; SGPRBlocks: 2
; VGPRBlocks: 1
; NumSGPRsForWavesPerEU: 18
; NumVGPRsForWavesPerEU: 15
; AccumOffset: 16
; Occupancy: 8
; WaveLimiterHint : 1
; COMPUTE_PGM_RSRC2:SCRATCH_EN: 0
; COMPUTE_PGM_RSRC2:USER_SGPR: 2
; COMPUTE_PGM_RSRC2:TRAP_HANDLER: 0
; COMPUTE_PGM_RSRC2:TGID_X_EN: 1
; COMPUTE_PGM_RSRC2:TGID_Y_EN: 0
; COMPUTE_PGM_RSRC2:TGID_Z_EN: 0
; COMPUTE_PGM_RSRC2:TIDIG_COMP_CNT: 0
; COMPUTE_PGM_RSRC3_GFX90A:ACCUM_OFFSET: 3
; COMPUTE_PGM_RSRC3_GFX90A:TG_SPLIT: 0
	.section	.text._Z6kernelI10flag_tailshLj256ELj1ELb1ELj100EEvPKT0_PS1_,"axG",@progbits,_Z6kernelI10flag_tailshLj256ELj1ELb1ELj100EEvPKT0_PS1_,comdat
	.protected	_Z6kernelI10flag_tailshLj256ELj1ELb1ELj100EEvPKT0_PS1_ ; -- Begin function _Z6kernelI10flag_tailshLj256ELj1ELb1ELj100EEvPKT0_PS1_
	.globl	_Z6kernelI10flag_tailshLj256ELj1ELb1ELj100EEvPKT0_PS1_
	.p2align	8
	.type	_Z6kernelI10flag_tailshLj256ELj1ELb1ELj100EEvPKT0_PS1_,@function
_Z6kernelI10flag_tailshLj256ELj1ELb1ELj100EEvPKT0_PS1_: ; @_Z6kernelI10flag_tailshLj256ELj1ELb1ELj100EEvPKT0_PS1_
; %bb.0:
	s_load_dwordx4 s[4:7], s[0:1], 0x0
	s_lshl_b32 s2, s2, 8
	v_mov_b32_e32 v1, 0
	s_movk_i32 s3, 0x64
	s_waitcnt lgkmcnt(0)
	s_add_u32 s0, s4, s2
	s_addc_u32 s1, s5, 0
	global_load_ubyte v2, v0, s[0:1]
	s_movk_i32 s0, 0xff
	v_cmp_ne_u32_e32 vcc, s0, v0
	s_branch .LBB65_2
.LBB65_1:                               ;   in Loop: Header=BB65_2 Depth=1
	s_or_b64 exec, exec, s[0:1]
	s_waitcnt lgkmcnt(0)
	v_cmp_eq_u16_sdwa s[0:1], v2, v3 src0_sel:BYTE_0 src1_sel:BYTE_0
	s_add_i32 s3, s3, -1
	s_cmp_lg_u32 s3, 0
	v_cndmask_b32_e64 v3, 0, 1, s[0:1]
	v_add_u16_e32 v2, v2, v3
	s_barrier
	s_cbranch_scc0 .LBB65_4
.LBB65_2:                               ; =>This Inner Loop Header: Depth=1
	v_mov_b32_e32 v3, 0x7b
	s_waitcnt vmcnt(0)
	ds_write_b8 v0, v2 offset:256
	s_waitcnt lgkmcnt(0)
	s_barrier
	s_and_saveexec_b64 s[0:1], vcc
	s_cbranch_execz .LBB65_1
; %bb.3:                                ;   in Loop: Header=BB65_2 Depth=1
	ds_read_u8 v3, v0 offset:257
	s_branch .LBB65_1
.LBB65_4:
	s_add_u32 s0, s6, s2
	s_addc_u32 s1, s7, 0
	v_lshl_add_u64 v[0:1], s[0:1], 0, v[0:1]
	global_store_byte v[0:1], v2, off
	s_endpgm
	.section	.rodata,"a",@progbits
	.p2align	6, 0x0
	.amdhsa_kernel _Z6kernelI10flag_tailshLj256ELj1ELb1ELj100EEvPKT0_PS1_
		.amdhsa_group_segment_fixed_size 512
		.amdhsa_private_segment_fixed_size 0
		.amdhsa_kernarg_size 16
		.amdhsa_user_sgpr_count 2
		.amdhsa_user_sgpr_dispatch_ptr 0
		.amdhsa_user_sgpr_queue_ptr 0
		.amdhsa_user_sgpr_kernarg_segment_ptr 1
		.amdhsa_user_sgpr_dispatch_id 0
		.amdhsa_user_sgpr_kernarg_preload_length 0
		.amdhsa_user_sgpr_kernarg_preload_offset 0
		.amdhsa_user_sgpr_private_segment_size 0
		.amdhsa_uses_dynamic_stack 0
		.amdhsa_enable_private_segment 0
		.amdhsa_system_sgpr_workgroup_id_x 1
		.amdhsa_system_sgpr_workgroup_id_y 0
		.amdhsa_system_sgpr_workgroup_id_z 0
		.amdhsa_system_sgpr_workgroup_info 0
		.amdhsa_system_vgpr_workitem_id 0
		.amdhsa_next_free_vgpr 4
		.amdhsa_next_free_sgpr 8
		.amdhsa_accum_offset 4
		.amdhsa_reserve_vcc 1
		.amdhsa_float_round_mode_32 0
		.amdhsa_float_round_mode_16_64 0
		.amdhsa_float_denorm_mode_32 3
		.amdhsa_float_denorm_mode_16_64 3
		.amdhsa_dx10_clamp 1
		.amdhsa_ieee_mode 1
		.amdhsa_fp16_overflow 0
		.amdhsa_tg_split 0
		.amdhsa_exception_fp_ieee_invalid_op 0
		.amdhsa_exception_fp_denorm_src 0
		.amdhsa_exception_fp_ieee_div_zero 0
		.amdhsa_exception_fp_ieee_overflow 0
		.amdhsa_exception_fp_ieee_underflow 0
		.amdhsa_exception_fp_ieee_inexact 0
		.amdhsa_exception_int_div_zero 0
	.end_amdhsa_kernel
	.section	.text._Z6kernelI10flag_tailshLj256ELj1ELb1ELj100EEvPKT0_PS1_,"axG",@progbits,_Z6kernelI10flag_tailshLj256ELj1ELb1ELj100EEvPKT0_PS1_,comdat
.Lfunc_end65:
	.size	_Z6kernelI10flag_tailshLj256ELj1ELb1ELj100EEvPKT0_PS1_, .Lfunc_end65-_Z6kernelI10flag_tailshLj256ELj1ELb1ELj100EEvPKT0_PS1_
                                        ; -- End function
	.section	.AMDGPU.csdata,"",@progbits
; Kernel info:
; codeLenInByte = 172
; NumSgprs: 14
; NumVgprs: 4
; NumAgprs: 0
; TotalNumVgprs: 4
; ScratchSize: 0
; MemoryBound: 0
; FloatMode: 240
; IeeeMode: 1
; LDSByteSize: 512 bytes/workgroup (compile time only)
; SGPRBlocks: 1
; VGPRBlocks: 0
; NumSGPRsForWavesPerEU: 14
; NumVGPRsForWavesPerEU: 4
; AccumOffset: 4
; Occupancy: 8
; WaveLimiterHint : 0
; COMPUTE_PGM_RSRC2:SCRATCH_EN: 0
; COMPUTE_PGM_RSRC2:USER_SGPR: 2
; COMPUTE_PGM_RSRC2:TRAP_HANDLER: 0
; COMPUTE_PGM_RSRC2:TGID_X_EN: 1
; COMPUTE_PGM_RSRC2:TGID_Y_EN: 0
; COMPUTE_PGM_RSRC2:TGID_Z_EN: 0
; COMPUTE_PGM_RSRC2:TIDIG_COMP_CNT: 0
; COMPUTE_PGM_RSRC3_GFX90A:ACCUM_OFFSET: 0
; COMPUTE_PGM_RSRC3_GFX90A:TG_SPLIT: 0
	.section	.text._Z6kernelI10flag_tailshLj256ELj2ELb1ELj100EEvPKT0_PS1_,"axG",@progbits,_Z6kernelI10flag_tailshLj256ELj2ELb1ELj100EEvPKT0_PS1_,comdat
	.protected	_Z6kernelI10flag_tailshLj256ELj2ELb1ELj100EEvPKT0_PS1_ ; -- Begin function _Z6kernelI10flag_tailshLj256ELj2ELb1ELj100EEvPKT0_PS1_
	.globl	_Z6kernelI10flag_tailshLj256ELj2ELb1ELj100EEvPKT0_PS1_
	.p2align	8
	.type	_Z6kernelI10flag_tailshLj256ELj2ELb1ELj100EEvPKT0_PS1_,@function
_Z6kernelI10flag_tailshLj256ELj2ELb1ELj100EEvPKT0_PS1_: ; @_Z6kernelI10flag_tailshLj256ELj2ELb1ELj100EEvPKT0_PS1_
; %bb.0:
	s_load_dwordx4 s[4:7], s[0:1], 0x0
	s_lshl_b32 s2, s2, 9
	v_mov_b32_e32 v1, 0
	s_movk_i32 s3, 0x64
	s_waitcnt lgkmcnt(0)
	s_add_u32 s0, s4, s2
	s_addc_u32 s1, s5, 0
	global_load_ubyte v2, v0, s[0:1] offset:256
	global_load_ubyte v3, v0, s[0:1]
	s_movk_i32 s0, 0xff
	v_cmp_ne_u32_e32 vcc, s0, v0
	s_waitcnt vmcnt(1)
	v_lshlrev_b16_e32 v2, 8, v2
	s_waitcnt vmcnt(0)
	v_or_b32_e32 v2, v3, v2
	v_and_b32_e32 v2, 0xffff, v2
	s_branch .LBB66_2
.LBB66_1:                               ;   in Loop: Header=BB66_2 Depth=1
	s_or_b64 exec, exec, s[0:1]
	v_cmp_eq_u16_sdwa s[0:1], v2, v2 src0_sel:BYTE_0 src1_sel:BYTE_1
	s_add_i32 s3, s3, -1
	s_cmp_lg_u32 s3, 0
	v_cndmask_b32_e64 v4, 0, 1, s[0:1]
	s_waitcnt lgkmcnt(0)
	v_cmp_eq_u16_sdwa s[0:1], v2, v3 src0_sel:BYTE_1 src1_sel:BYTE_0
	v_add_u16_e32 v3, v2, v4
	s_nop 0
	v_cndmask_b32_e64 v5, 0, 1, s[0:1]
	v_add_u16_sdwa v4, v2, v5 dst_sel:DWORD dst_unused:UNUSED_PAD src0_sel:BYTE_1 src1_sel:DWORD
	v_lshlrev_b16_e32 v2, 8, v4
	v_or_b32_sdwa v2, v3, v2 dst_sel:DWORD dst_unused:UNUSED_PAD src0_sel:BYTE_0 src1_sel:DWORD
	v_and_b32_e32 v2, 0xffff, v2
	s_barrier
	s_cbranch_scc0 .LBB66_4
.LBB66_2:                               ; =>This Inner Loop Header: Depth=1
	v_mov_b32_e32 v3, 0x7b
	ds_write_b8 v0, v2 offset:256
	s_waitcnt lgkmcnt(0)
	s_barrier
	s_and_saveexec_b64 s[0:1], vcc
	s_cbranch_execz .LBB66_1
; %bb.3:                                ;   in Loop: Header=BB66_2 Depth=1
	ds_read_u8 v3, v0 offset:257
	s_branch .LBB66_1
.LBB66_4:
	s_add_u32 s0, s6, s2
	s_addc_u32 s1, s7, 0
	v_lshl_add_u64 v[0:1], s[0:1], 0, v[0:1]
	global_store_byte v[0:1], v3, off
	global_store_byte v[0:1], v4, off offset:256
	s_endpgm
	.section	.rodata,"a",@progbits
	.p2align	6, 0x0
	.amdhsa_kernel _Z6kernelI10flag_tailshLj256ELj2ELb1ELj100EEvPKT0_PS1_
		.amdhsa_group_segment_fixed_size 512
		.amdhsa_private_segment_fixed_size 0
		.amdhsa_kernarg_size 16
		.amdhsa_user_sgpr_count 2
		.amdhsa_user_sgpr_dispatch_ptr 0
		.amdhsa_user_sgpr_queue_ptr 0
		.amdhsa_user_sgpr_kernarg_segment_ptr 1
		.amdhsa_user_sgpr_dispatch_id 0
		.amdhsa_user_sgpr_kernarg_preload_length 0
		.amdhsa_user_sgpr_kernarg_preload_offset 0
		.amdhsa_user_sgpr_private_segment_size 0
		.amdhsa_uses_dynamic_stack 0
		.amdhsa_enable_private_segment 0
		.amdhsa_system_sgpr_workgroup_id_x 1
		.amdhsa_system_sgpr_workgroup_id_y 0
		.amdhsa_system_sgpr_workgroup_id_z 0
		.amdhsa_system_sgpr_workgroup_info 0
		.amdhsa_system_vgpr_workitem_id 0
		.amdhsa_next_free_vgpr 6
		.amdhsa_next_free_sgpr 8
		.amdhsa_accum_offset 8
		.amdhsa_reserve_vcc 1
		.amdhsa_float_round_mode_32 0
		.amdhsa_float_round_mode_16_64 0
		.amdhsa_float_denorm_mode_32 3
		.amdhsa_float_denorm_mode_16_64 3
		.amdhsa_dx10_clamp 1
		.amdhsa_ieee_mode 1
		.amdhsa_fp16_overflow 0
		.amdhsa_tg_split 0
		.amdhsa_exception_fp_ieee_invalid_op 0
		.amdhsa_exception_fp_denorm_src 0
		.amdhsa_exception_fp_ieee_div_zero 0
		.amdhsa_exception_fp_ieee_overflow 0
		.amdhsa_exception_fp_ieee_underflow 0
		.amdhsa_exception_fp_ieee_inexact 0
		.amdhsa_exception_int_div_zero 0
	.end_amdhsa_kernel
	.section	.text._Z6kernelI10flag_tailshLj256ELj2ELb1ELj100EEvPKT0_PS1_,"axG",@progbits,_Z6kernelI10flag_tailshLj256ELj2ELb1ELj100EEvPKT0_PS1_,comdat
.Lfunc_end66:
	.size	_Z6kernelI10flag_tailshLj256ELj2ELb1ELj100EEvPKT0_PS1_, .Lfunc_end66-_Z6kernelI10flag_tailshLj256ELj2ELb1ELj100EEvPKT0_PS1_
                                        ; -- End function
	.section	.AMDGPU.csdata,"",@progbits
; Kernel info:
; codeLenInByte = 256
; NumSgprs: 14
; NumVgprs: 6
; NumAgprs: 0
; TotalNumVgprs: 6
; ScratchSize: 0
; MemoryBound: 0
; FloatMode: 240
; IeeeMode: 1
; LDSByteSize: 512 bytes/workgroup (compile time only)
; SGPRBlocks: 1
; VGPRBlocks: 0
; NumSGPRsForWavesPerEU: 14
; NumVGPRsForWavesPerEU: 6
; AccumOffset: 8
; Occupancy: 8
; WaveLimiterHint : 1
; COMPUTE_PGM_RSRC2:SCRATCH_EN: 0
; COMPUTE_PGM_RSRC2:USER_SGPR: 2
; COMPUTE_PGM_RSRC2:TRAP_HANDLER: 0
; COMPUTE_PGM_RSRC2:TGID_X_EN: 1
; COMPUTE_PGM_RSRC2:TGID_Y_EN: 0
; COMPUTE_PGM_RSRC2:TGID_Z_EN: 0
; COMPUTE_PGM_RSRC2:TIDIG_COMP_CNT: 0
; COMPUTE_PGM_RSRC3_GFX90A:ACCUM_OFFSET: 1
; COMPUTE_PGM_RSRC3_GFX90A:TG_SPLIT: 0
	.section	.text._Z6kernelI10flag_tailshLj256ELj3ELb1ELj100EEvPKT0_PS1_,"axG",@progbits,_Z6kernelI10flag_tailshLj256ELj3ELb1ELj100EEvPKT0_PS1_,comdat
	.protected	_Z6kernelI10flag_tailshLj256ELj3ELb1ELj100EEvPKT0_PS1_ ; -- Begin function _Z6kernelI10flag_tailshLj256ELj3ELb1ELj100EEvPKT0_PS1_
	.globl	_Z6kernelI10flag_tailshLj256ELj3ELb1ELj100EEvPKT0_PS1_
	.p2align	8
	.type	_Z6kernelI10flag_tailshLj256ELj3ELb1ELj100EEvPKT0_PS1_,@function
_Z6kernelI10flag_tailshLj256ELj3ELb1ELj100EEvPKT0_PS1_: ; @_Z6kernelI10flag_tailshLj256ELj3ELb1ELj100EEvPKT0_PS1_
; %bb.0:
	s_load_dwordx4 s[4:7], s[0:1], 0x0
	s_mulk_i32 s2, 0x300
	s_movk_i32 s3, 0xff
	v_mov_b32_e32 v1, 0
	v_cmp_ne_u32_e32 vcc, s3, v0
	s_waitcnt lgkmcnt(0)
	s_add_u32 s0, s4, s2
	s_addc_u32 s1, s5, 0
	global_load_ubyte v2, v0, s[0:1] offset:256
	global_load_ubyte v3, v0, s[0:1]
	global_load_ubyte v4, v0, s[0:1] offset:512
	s_movk_i32 s4, 0x64
	s_waitcnt vmcnt(2)
	v_lshlrev_b16_e32 v2, 8, v2
	s_waitcnt vmcnt(1)
	v_or_b32_e32 v2, v3, v2
	v_and_b32_e32 v2, 0xffff, v2
	s_waitcnt vmcnt(0)
	v_lshl_or_b32 v2, v4, 16, v2
	s_branch .LBB67_2
.LBB67_1:                               ;   in Loop: Header=BB67_2 Depth=1
	s_or_b64 exec, exec, s[0:1]
	v_lshrrev_b32_e32 v4, 8, v2
	v_cmp_eq_u16_sdwa s[0:1], v2, v4 src0_sel:BYTE_0 src1_sel:BYTE_0
	v_and_b32_sdwa v6, v2, s3 dst_sel:DWORD dst_unused:UNUSED_PAD src0_sel:WORD_1 src1_sel:DWORD
	s_add_i32 s4, s4, -1
	v_cndmask_b32_e64 v5, 0, 1, s[0:1]
	v_cmp_eq_u16_sdwa s[0:1], v4, v6 src0_sel:BYTE_0 src1_sel:DWORD
	s_cmp_lg_u32 s4, 0
	s_waitcnt lgkmcnt(0)
	v_cndmask_b32_e64 v7, 0, 1, s[0:1]
	v_cmp_eq_u16_sdwa s[0:1], v6, v3 src0_sel:DWORD src1_sel:BYTE_0
	v_add_u16_e32 v3, v2, v5
	v_add_u16_e32 v4, v4, v7
	v_cndmask_b32_e64 v6, 0, 1, s[0:1]
	v_add_u16_sdwa v5, v2, v6 dst_sel:DWORD dst_unused:UNUSED_PAD src0_sel:WORD_1 src1_sel:DWORD
	v_lshlrev_b16_e32 v2, 8, v4
	v_and_b32_e32 v6, 0xff, v5
	v_or_b32_sdwa v2, v3, v2 dst_sel:DWORD dst_unused:UNUSED_PAD src0_sel:BYTE_0 src1_sel:DWORD
	v_lshlrev_b32_e32 v6, 16, v6
	v_or_b32_sdwa v2, v2, v6 dst_sel:DWORD dst_unused:UNUSED_PAD src0_sel:WORD_0 src1_sel:DWORD
	s_barrier
	s_cbranch_scc0 .LBB67_4
.LBB67_2:                               ; =>This Inner Loop Header: Depth=1
	v_mov_b32_e32 v3, 0x7b
	ds_write_b8 v0, v2 offset:256
	s_waitcnt lgkmcnt(0)
	s_barrier
	s_and_saveexec_b64 s[0:1], vcc
	s_cbranch_execz .LBB67_1
; %bb.3:                                ;   in Loop: Header=BB67_2 Depth=1
	ds_read_u8 v3, v0 offset:257
	s_branch .LBB67_1
.LBB67_4:
	s_add_u32 s0, s6, s2
	s_addc_u32 s1, s7, 0
	v_lshl_add_u64 v[0:1], s[0:1], 0, v[0:1]
	global_store_byte v[0:1], v3, off
	global_store_byte v[0:1], v4, off offset:256
	global_store_byte v[0:1], v5, off offset:512
	s_endpgm
	.section	.rodata,"a",@progbits
	.p2align	6, 0x0
	.amdhsa_kernel _Z6kernelI10flag_tailshLj256ELj3ELb1ELj100EEvPKT0_PS1_
		.amdhsa_group_segment_fixed_size 512
		.amdhsa_private_segment_fixed_size 0
		.amdhsa_kernarg_size 16
		.amdhsa_user_sgpr_count 2
		.amdhsa_user_sgpr_dispatch_ptr 0
		.amdhsa_user_sgpr_queue_ptr 0
		.amdhsa_user_sgpr_kernarg_segment_ptr 1
		.amdhsa_user_sgpr_dispatch_id 0
		.amdhsa_user_sgpr_kernarg_preload_length 0
		.amdhsa_user_sgpr_kernarg_preload_offset 0
		.amdhsa_user_sgpr_private_segment_size 0
		.amdhsa_uses_dynamic_stack 0
		.amdhsa_enable_private_segment 0
		.amdhsa_system_sgpr_workgroup_id_x 1
		.amdhsa_system_sgpr_workgroup_id_y 0
		.amdhsa_system_sgpr_workgroup_id_z 0
		.amdhsa_system_sgpr_workgroup_info 0
		.amdhsa_system_vgpr_workitem_id 0
		.amdhsa_next_free_vgpr 8
		.amdhsa_next_free_sgpr 8
		.amdhsa_accum_offset 8
		.amdhsa_reserve_vcc 1
		.amdhsa_float_round_mode_32 0
		.amdhsa_float_round_mode_16_64 0
		.amdhsa_float_denorm_mode_32 3
		.amdhsa_float_denorm_mode_16_64 3
		.amdhsa_dx10_clamp 1
		.amdhsa_ieee_mode 1
		.amdhsa_fp16_overflow 0
		.amdhsa_tg_split 0
		.amdhsa_exception_fp_ieee_invalid_op 0
		.amdhsa_exception_fp_denorm_src 0
		.amdhsa_exception_fp_ieee_div_zero 0
		.amdhsa_exception_fp_ieee_overflow 0
		.amdhsa_exception_fp_ieee_underflow 0
		.amdhsa_exception_fp_ieee_inexact 0
		.amdhsa_exception_int_div_zero 0
	.end_amdhsa_kernel
	.section	.text._Z6kernelI10flag_tailshLj256ELj3ELb1ELj100EEvPKT0_PS1_,"axG",@progbits,_Z6kernelI10flag_tailshLj256ELj3ELb1ELj100EEvPKT0_PS1_,comdat
.Lfunc_end67:
	.size	_Z6kernelI10flag_tailshLj256ELj3ELb1ELj100EEvPKT0_PS1_, .Lfunc_end67-_Z6kernelI10flag_tailshLj256ELj3ELb1ELj100EEvPKT0_PS1_
                                        ; -- End function
	.section	.AMDGPU.csdata,"",@progbits
; Kernel info:
; codeLenInByte = 324
; NumSgprs: 14
; NumVgprs: 8
; NumAgprs: 0
; TotalNumVgprs: 8
; ScratchSize: 0
; MemoryBound: 0
; FloatMode: 240
; IeeeMode: 1
; LDSByteSize: 512 bytes/workgroup (compile time only)
; SGPRBlocks: 1
; VGPRBlocks: 0
; NumSGPRsForWavesPerEU: 14
; NumVGPRsForWavesPerEU: 8
; AccumOffset: 8
; Occupancy: 8
; WaveLimiterHint : 1
; COMPUTE_PGM_RSRC2:SCRATCH_EN: 0
; COMPUTE_PGM_RSRC2:USER_SGPR: 2
; COMPUTE_PGM_RSRC2:TRAP_HANDLER: 0
; COMPUTE_PGM_RSRC2:TGID_X_EN: 1
; COMPUTE_PGM_RSRC2:TGID_Y_EN: 0
; COMPUTE_PGM_RSRC2:TGID_Z_EN: 0
; COMPUTE_PGM_RSRC2:TIDIG_COMP_CNT: 0
; COMPUTE_PGM_RSRC3_GFX90A:ACCUM_OFFSET: 1
; COMPUTE_PGM_RSRC3_GFX90A:TG_SPLIT: 0
	.section	.text._Z6kernelI10flag_tailshLj256ELj4ELb1ELj100EEvPKT0_PS1_,"axG",@progbits,_Z6kernelI10flag_tailshLj256ELj4ELb1ELj100EEvPKT0_PS1_,comdat
	.protected	_Z6kernelI10flag_tailshLj256ELj4ELb1ELj100EEvPKT0_PS1_ ; -- Begin function _Z6kernelI10flag_tailshLj256ELj4ELb1ELj100EEvPKT0_PS1_
	.globl	_Z6kernelI10flag_tailshLj256ELj4ELb1ELj100EEvPKT0_PS1_
	.p2align	8
	.type	_Z6kernelI10flag_tailshLj256ELj4ELb1ELj100EEvPKT0_PS1_,@function
_Z6kernelI10flag_tailshLj256ELj4ELb1ELj100EEvPKT0_PS1_: ; @_Z6kernelI10flag_tailshLj256ELj4ELb1ELj100EEvPKT0_PS1_
; %bb.0:
	s_load_dwordx4 s[4:7], s[0:1], 0x0
	s_lshl_b32 s2, s2, 10
	s_movk_i32 s3, 0xff
	v_mov_b32_e32 v1, 0
	v_cmp_ne_u32_e32 vcc, s3, v0
	s_waitcnt lgkmcnt(0)
	s_add_u32 s0, s4, s2
	s_addc_u32 s1, s5, 0
	global_load_ubyte v2, v0, s[0:1] offset:256
	global_load_ubyte v3, v0, s[0:1] offset:768
	global_load_ubyte v4, v0, s[0:1]
	global_load_ubyte v5, v0, s[0:1] offset:512
	s_movk_i32 s4, 0x64
	s_waitcnt vmcnt(3)
	v_lshlrev_b16_e32 v2, 8, v2
	s_waitcnt vmcnt(2)
	v_lshlrev_b16_e32 v3, 8, v3
	s_waitcnt vmcnt(1)
	v_or_b32_e32 v2, v4, v2
	s_waitcnt vmcnt(0)
	v_or_b32_sdwa v3, v5, v3 dst_sel:WORD_1 dst_unused:UNUSED_PAD src0_sel:DWORD src1_sel:DWORD
	s_nop 0
	v_or_b32_sdwa v2, v2, v3 dst_sel:DWORD dst_unused:UNUSED_PAD src0_sel:WORD_0 src1_sel:DWORD
	s_branch .LBB68_2
.LBB68_1:                               ;   in Loop: Header=BB68_2 Depth=1
	s_or_b64 exec, exec, s[0:1]
	v_lshrrev_b32_e32 v4, 8, v2
	v_cmp_eq_u16_sdwa s[0:1], v2, v4 src0_sel:BYTE_0 src1_sel:BYTE_0
	v_and_b32_sdwa v6, v2, s3 dst_sel:DWORD dst_unused:UNUSED_PAD src0_sel:WORD_1 src1_sel:DWORD
	s_add_i32 s4, s4, -1
	v_cndmask_b32_e64 v5, 0, 1, s[0:1]
	v_cmp_eq_u16_sdwa s[0:1], v4, v6 src0_sel:BYTE_0 src1_sel:DWORD
	s_cmp_lg_u32 s4, 0
	s_waitcnt lgkmcnt(0)
	v_cndmask_b32_e64 v7, 0, 1, s[0:1]
	v_cmp_eq_u16_sdwa s[0:1], v6, v2 src0_sel:DWORD src1_sel:BYTE_3
	v_add_u16_e32 v4, v4, v7
	s_barrier
	v_cndmask_b32_e64 v6, 0, 1, s[0:1]
	v_cmp_eq_u16_sdwa s[0:1], v2, v3 src0_sel:BYTE_3 src1_sel:BYTE_0
	v_add_u16_e32 v3, v2, v5
	v_add_u16_sdwa v5, v2, v6 dst_sel:DWORD dst_unused:UNUSED_PAD src0_sel:WORD_1 src1_sel:DWORD
	v_cndmask_b32_e64 v8, 0, 1, s[0:1]
	v_add_u16_sdwa v6, v2, v8 dst_sel:DWORD dst_unused:UNUSED_PAD src0_sel:BYTE_3 src1_sel:DWORD
	v_lshlrev_b16_e32 v2, 8, v4
	v_lshlrev_b16_e32 v7, 8, v6
	v_or_b32_sdwa v2, v3, v2 dst_sel:DWORD dst_unused:UNUSED_PAD src0_sel:BYTE_0 src1_sel:DWORD
	v_or_b32_sdwa v7, v5, v7 dst_sel:WORD_1 dst_unused:UNUSED_PAD src0_sel:BYTE_0 src1_sel:DWORD
	s_nop 0
	v_or_b32_sdwa v2, v2, v7 dst_sel:DWORD dst_unused:UNUSED_PAD src0_sel:WORD_0 src1_sel:DWORD
	s_cbranch_scc0 .LBB68_4
.LBB68_2:                               ; =>This Inner Loop Header: Depth=1
	v_mov_b32_e32 v3, 0x7b
	ds_write_b8 v0, v2 offset:256
	s_waitcnt lgkmcnt(0)
	s_barrier
	s_and_saveexec_b64 s[0:1], vcc
	s_cbranch_execz .LBB68_1
; %bb.3:                                ;   in Loop: Header=BB68_2 Depth=1
	ds_read_u8 v3, v0 offset:257
	s_branch .LBB68_1
.LBB68_4:
	s_add_u32 s0, s6, s2
	s_addc_u32 s1, s7, 0
	v_lshl_add_u64 v[0:1], s[0:1], 0, v[0:1]
	global_store_byte v[0:1], v3, off
	global_store_byte v[0:1], v4, off offset:256
	global_store_byte v[0:1], v5, off offset:512
	;; [unrolled: 1-line block ×3, first 2 shown]
	s_endpgm
	.section	.rodata,"a",@progbits
	.p2align	6, 0x0
	.amdhsa_kernel _Z6kernelI10flag_tailshLj256ELj4ELb1ELj100EEvPKT0_PS1_
		.amdhsa_group_segment_fixed_size 512
		.amdhsa_private_segment_fixed_size 0
		.amdhsa_kernarg_size 16
		.amdhsa_user_sgpr_count 2
		.amdhsa_user_sgpr_dispatch_ptr 0
		.amdhsa_user_sgpr_queue_ptr 0
		.amdhsa_user_sgpr_kernarg_segment_ptr 1
		.amdhsa_user_sgpr_dispatch_id 0
		.amdhsa_user_sgpr_kernarg_preload_length 0
		.amdhsa_user_sgpr_kernarg_preload_offset 0
		.amdhsa_user_sgpr_private_segment_size 0
		.amdhsa_uses_dynamic_stack 0
		.amdhsa_enable_private_segment 0
		.amdhsa_system_sgpr_workgroup_id_x 1
		.amdhsa_system_sgpr_workgroup_id_y 0
		.amdhsa_system_sgpr_workgroup_id_z 0
		.amdhsa_system_sgpr_workgroup_info 0
		.amdhsa_system_vgpr_workitem_id 0
		.amdhsa_next_free_vgpr 9
		.amdhsa_next_free_sgpr 8
		.amdhsa_accum_offset 12
		.amdhsa_reserve_vcc 1
		.amdhsa_float_round_mode_32 0
		.amdhsa_float_round_mode_16_64 0
		.amdhsa_float_denorm_mode_32 3
		.amdhsa_float_denorm_mode_16_64 3
		.amdhsa_dx10_clamp 1
		.amdhsa_ieee_mode 1
		.amdhsa_fp16_overflow 0
		.amdhsa_tg_split 0
		.amdhsa_exception_fp_ieee_invalid_op 0
		.amdhsa_exception_fp_denorm_src 0
		.amdhsa_exception_fp_ieee_div_zero 0
		.amdhsa_exception_fp_ieee_overflow 0
		.amdhsa_exception_fp_ieee_underflow 0
		.amdhsa_exception_fp_ieee_inexact 0
		.amdhsa_exception_int_div_zero 0
	.end_amdhsa_kernel
	.section	.text._Z6kernelI10flag_tailshLj256ELj4ELb1ELj100EEvPKT0_PS1_,"axG",@progbits,_Z6kernelI10flag_tailshLj256ELj4ELb1ELj100EEvPKT0_PS1_,comdat
.Lfunc_end68:
	.size	_Z6kernelI10flag_tailshLj256ELj4ELb1ELj100EEvPKT0_PS1_, .Lfunc_end68-_Z6kernelI10flag_tailshLj256ELj4ELb1ELj100EEvPKT0_PS1_
                                        ; -- End function
	.section	.AMDGPU.csdata,"",@progbits
; Kernel info:
; codeLenInByte = 380
; NumSgprs: 14
; NumVgprs: 9
; NumAgprs: 0
; TotalNumVgprs: 9
; ScratchSize: 0
; MemoryBound: 0
; FloatMode: 240
; IeeeMode: 1
; LDSByteSize: 512 bytes/workgroup (compile time only)
; SGPRBlocks: 1
; VGPRBlocks: 1
; NumSGPRsForWavesPerEU: 14
; NumVGPRsForWavesPerEU: 9
; AccumOffset: 12
; Occupancy: 8
; WaveLimiterHint : 1
; COMPUTE_PGM_RSRC2:SCRATCH_EN: 0
; COMPUTE_PGM_RSRC2:USER_SGPR: 2
; COMPUTE_PGM_RSRC2:TRAP_HANDLER: 0
; COMPUTE_PGM_RSRC2:TGID_X_EN: 1
; COMPUTE_PGM_RSRC2:TGID_Y_EN: 0
; COMPUTE_PGM_RSRC2:TGID_Z_EN: 0
; COMPUTE_PGM_RSRC2:TIDIG_COMP_CNT: 0
; COMPUTE_PGM_RSRC3_GFX90A:ACCUM_OFFSET: 2
; COMPUTE_PGM_RSRC3_GFX90A:TG_SPLIT: 0
	.section	.text._Z6kernelI10flag_tailshLj256ELj8ELb1ELj100EEvPKT0_PS1_,"axG",@progbits,_Z6kernelI10flag_tailshLj256ELj8ELb1ELj100EEvPKT0_PS1_,comdat
	.protected	_Z6kernelI10flag_tailshLj256ELj8ELb1ELj100EEvPKT0_PS1_ ; -- Begin function _Z6kernelI10flag_tailshLj256ELj8ELb1ELj100EEvPKT0_PS1_
	.globl	_Z6kernelI10flag_tailshLj256ELj8ELb1ELj100EEvPKT0_PS1_
	.p2align	8
	.type	_Z6kernelI10flag_tailshLj256ELj8ELb1ELj100EEvPKT0_PS1_,@function
_Z6kernelI10flag_tailshLj256ELj8ELb1ELj100EEvPKT0_PS1_: ; @_Z6kernelI10flag_tailshLj256ELj8ELb1ELj100EEvPKT0_PS1_
; %bb.0:
	s_load_dwordx4 s[4:7], s[0:1], 0x0
	s_lshl_b32 s2, s2, 11
	s_movk_i32 s3, 0xff
	v_mov_b32_e32 v1, 0
	v_cmp_ne_u32_e32 vcc, s3, v0
	s_waitcnt lgkmcnt(0)
	s_add_u32 s0, s4, s2
	s_addc_u32 s1, s5, 0
	global_load_ubyte v2, v0, s[0:1] offset:256
	global_load_ubyte v3, v0, s[0:1] offset:768
	;; [unrolled: 1-line block ×4, first 2 shown]
	global_load_ubyte v6, v0, s[0:1]
	global_load_ubyte v7, v0, s[0:1] offset:512
	global_load_ubyte v8, v0, s[0:1] offset:1024
	;; [unrolled: 1-line block ×3, first 2 shown]
	s_movk_i32 s4, 0x64
	s_waitcnt vmcnt(7)
	v_lshlrev_b16_e32 v2, 8, v2
	s_waitcnt vmcnt(6)
	v_lshlrev_b16_e32 v3, 8, v3
	;; [unrolled: 2-line block ×4, first 2 shown]
	s_waitcnt vmcnt(3)
	v_or_b32_e32 v2, v6, v2
	s_waitcnt vmcnt(2)
	v_or_b32_sdwa v3, v7, v3 dst_sel:WORD_1 dst_unused:UNUSED_PAD src0_sel:DWORD src1_sel:DWORD
	s_waitcnt vmcnt(1)
	v_or_b32_e32 v4, v8, v4
	s_waitcnt vmcnt(0)
	v_or_b32_sdwa v5, v9, v5 dst_sel:WORD_1 dst_unused:UNUSED_PAD src0_sel:DWORD src1_sel:DWORD
	v_or_b32_sdwa v2, v2, v3 dst_sel:DWORD dst_unused:UNUSED_PAD src0_sel:WORD_0 src1_sel:DWORD
	v_or_b32_sdwa v3, v4, v5 dst_sel:DWORD dst_unused:UNUSED_PAD src0_sel:WORD_0 src1_sel:DWORD
	s_branch .LBB69_2
.LBB69_1:                               ;   in Loop: Header=BB69_2 Depth=1
	s_or_b64 exec, exec, s[0:1]
	v_lshrrev_b32_e32 v5, 8, v2
	v_cmp_eq_u16_sdwa s[0:1], v2, v5 src0_sel:BYTE_0 src1_sel:BYTE_0
	v_and_b32_sdwa v7, v2, s3 dst_sel:DWORD dst_unused:UNUSED_PAD src0_sel:WORD_1 src1_sel:DWORD
	v_lshrrev_b64 v[8:9], 24, v[2:3]
	v_cndmask_b32_e64 v6, 0, 1, s[0:1]
	v_cmp_eq_u16_sdwa s[0:1], v5, v7 src0_sel:BYTE_0 src1_sel:DWORD
	v_lshrrev_b32_e32 v11, 8, v3
	v_and_b32_sdwa v13, v3, s3 dst_sel:DWORD dst_unused:UNUSED_PAD src0_sel:WORD_1 src1_sel:DWORD
	v_cndmask_b32_e64 v10, 0, 1, s[0:1]
	v_cmp_eq_u16_sdwa s[0:1], v7, v8 src0_sel:DWORD src1_sel:BYTE_0
	v_add_u16_e32 v5, v5, v10
	s_add_i32 s4, s4, -1
	v_cndmask_b32_e64 v7, 0, 1, s[0:1]
	v_cmp_eq_u16_sdwa s[0:1], v8, v3 src0_sel:BYTE_0 src1_sel:BYTE_0
	s_cmp_lg_u32 s4, 0
	s_waitcnt lgkmcnt(0)
	v_cndmask_b32_e64 v9, 0, 1, s[0:1]
	v_cmp_eq_u16_sdwa s[0:1], v3, v11 src0_sel:BYTE_0 src1_sel:BYTE_0
	s_barrier
	s_nop 0
	v_cndmask_b32_e64 v12, 0, 1, s[0:1]
	v_cmp_eq_u16_sdwa s[0:1], v11, v13 src0_sel:BYTE_0 src1_sel:DWORD
	s_nop 1
	v_cndmask_b32_e64 v14, 0, 1, s[0:1]
	v_cmp_eq_u16_sdwa s[0:1], v13, v3 src0_sel:DWORD src1_sel:BYTE_3
	s_nop 1
	v_cndmask_b32_e64 v13, 0, 1, s[0:1]
	v_cmp_eq_u16_sdwa s[0:1], v3, v4 src0_sel:BYTE_3 src1_sel:BYTE_0
	v_add_u16_e32 v4, v2, v6
	v_add_u16_sdwa v6, v2, v7 dst_sel:DWORD dst_unused:UNUSED_PAD src0_sel:WORD_1 src1_sel:DWORD
	v_cndmask_b32_e64 v15, 0, 1, s[0:1]
	v_add_u16_e32 v7, v8, v9
	v_add_u16_e32 v8, v3, v12
	;; [unrolled: 1-line block ×3, first 2 shown]
	v_add_u16_sdwa v10, v3, v13 dst_sel:DWORD dst_unused:UNUSED_PAD src0_sel:WORD_1 src1_sel:DWORD
	v_add_u16_sdwa v11, v3, v15 dst_sel:DWORD dst_unused:UNUSED_PAD src0_sel:BYTE_3 src1_sel:DWORD
	v_lshlrev_b16_e32 v2, 8, v5
	v_lshlrev_b16_e32 v3, 8, v7
	v_or_b32_sdwa v2, v4, v2 dst_sel:DWORD dst_unused:UNUSED_PAD src0_sel:BYTE_0 src1_sel:DWORD
	v_or_b32_sdwa v3, v6, v3 dst_sel:WORD_1 dst_unused:UNUSED_PAD src0_sel:BYTE_0 src1_sel:DWORD
	v_lshlrev_b16_e32 v12, 8, v11
	v_or_b32_sdwa v2, v2, v3 dst_sel:DWORD dst_unused:UNUSED_PAD src0_sel:WORD_0 src1_sel:DWORD
	v_lshlrev_b16_e32 v3, 8, v9
	v_or_b32_sdwa v3, v8, v3 dst_sel:DWORD dst_unused:UNUSED_PAD src0_sel:BYTE_0 src1_sel:DWORD
	v_or_b32_sdwa v12, v10, v12 dst_sel:WORD_1 dst_unused:UNUSED_PAD src0_sel:BYTE_0 src1_sel:DWORD
	s_nop 0
	v_or_b32_sdwa v3, v3, v12 dst_sel:DWORD dst_unused:UNUSED_PAD src0_sel:WORD_0 src1_sel:DWORD
	s_cbranch_scc0 .LBB69_4
.LBB69_2:                               ; =>This Inner Loop Header: Depth=1
	v_mov_b32_e32 v4, 0x7b
	ds_write_b8 v0, v2 offset:256
	s_waitcnt lgkmcnt(0)
	s_barrier
	s_and_saveexec_b64 s[0:1], vcc
	s_cbranch_execz .LBB69_1
; %bb.3:                                ;   in Loop: Header=BB69_2 Depth=1
	ds_read_u8 v4, v0 offset:257
	s_branch .LBB69_1
.LBB69_4:
	s_add_u32 s0, s6, s2
	s_addc_u32 s1, s7, 0
	v_lshl_add_u64 v[0:1], s[0:1], 0, v[0:1]
	global_store_byte v[0:1], v4, off
	global_store_byte v[0:1], v5, off offset:256
	global_store_byte v[0:1], v6, off offset:512
	;; [unrolled: 1-line block ×7, first 2 shown]
	s_endpgm
	.section	.rodata,"a",@progbits
	.p2align	6, 0x0
	.amdhsa_kernel _Z6kernelI10flag_tailshLj256ELj8ELb1ELj100EEvPKT0_PS1_
		.amdhsa_group_segment_fixed_size 512
		.amdhsa_private_segment_fixed_size 0
		.amdhsa_kernarg_size 16
		.amdhsa_user_sgpr_count 2
		.amdhsa_user_sgpr_dispatch_ptr 0
		.amdhsa_user_sgpr_queue_ptr 0
		.amdhsa_user_sgpr_kernarg_segment_ptr 1
		.amdhsa_user_sgpr_dispatch_id 0
		.amdhsa_user_sgpr_kernarg_preload_length 0
		.amdhsa_user_sgpr_kernarg_preload_offset 0
		.amdhsa_user_sgpr_private_segment_size 0
		.amdhsa_uses_dynamic_stack 0
		.amdhsa_enable_private_segment 0
		.amdhsa_system_sgpr_workgroup_id_x 1
		.amdhsa_system_sgpr_workgroup_id_y 0
		.amdhsa_system_sgpr_workgroup_id_z 0
		.amdhsa_system_sgpr_workgroup_info 0
		.amdhsa_system_vgpr_workitem_id 0
		.amdhsa_next_free_vgpr 16
		.amdhsa_next_free_sgpr 8
		.amdhsa_accum_offset 16
		.amdhsa_reserve_vcc 1
		.amdhsa_float_round_mode_32 0
		.amdhsa_float_round_mode_16_64 0
		.amdhsa_float_denorm_mode_32 3
		.amdhsa_float_denorm_mode_16_64 3
		.amdhsa_dx10_clamp 1
		.amdhsa_ieee_mode 1
		.amdhsa_fp16_overflow 0
		.amdhsa_tg_split 0
		.amdhsa_exception_fp_ieee_invalid_op 0
		.amdhsa_exception_fp_denorm_src 0
		.amdhsa_exception_fp_ieee_div_zero 0
		.amdhsa_exception_fp_ieee_overflow 0
		.amdhsa_exception_fp_ieee_underflow 0
		.amdhsa_exception_fp_ieee_inexact 0
		.amdhsa_exception_int_div_zero 0
	.end_amdhsa_kernel
	.section	.text._Z6kernelI10flag_tailshLj256ELj8ELb1ELj100EEvPKT0_PS1_,"axG",@progbits,_Z6kernelI10flag_tailshLj256ELj8ELb1ELj100EEvPKT0_PS1_,comdat
.Lfunc_end69:
	.size	_Z6kernelI10flag_tailshLj256ELj8ELb1ELj100EEvPKT0_PS1_, .Lfunc_end69-_Z6kernelI10flag_tailshLj256ELj8ELb1ELj100EEvPKT0_PS1_
                                        ; -- End function
	.section	.AMDGPU.csdata,"",@progbits
; Kernel info:
; codeLenInByte = 632
; NumSgprs: 14
; NumVgprs: 16
; NumAgprs: 0
; TotalNumVgprs: 16
; ScratchSize: 0
; MemoryBound: 0
; FloatMode: 240
; IeeeMode: 1
; LDSByteSize: 512 bytes/workgroup (compile time only)
; SGPRBlocks: 1
; VGPRBlocks: 1
; NumSGPRsForWavesPerEU: 14
; NumVGPRsForWavesPerEU: 16
; AccumOffset: 16
; Occupancy: 8
; WaveLimiterHint : 1
; COMPUTE_PGM_RSRC2:SCRATCH_EN: 0
; COMPUTE_PGM_RSRC2:USER_SGPR: 2
; COMPUTE_PGM_RSRC2:TRAP_HANDLER: 0
; COMPUTE_PGM_RSRC2:TGID_X_EN: 1
; COMPUTE_PGM_RSRC2:TGID_Y_EN: 0
; COMPUTE_PGM_RSRC2:TGID_Z_EN: 0
; COMPUTE_PGM_RSRC2:TIDIG_COMP_CNT: 0
; COMPUTE_PGM_RSRC3_GFX90A:ACCUM_OFFSET: 3
; COMPUTE_PGM_RSRC3_GFX90A:TG_SPLIT: 0
	.section	.text._Z6kernelI10flag_tailsxLj256ELj1ELb0ELj100EEvPKT0_PS1_,"axG",@progbits,_Z6kernelI10flag_tailsxLj256ELj1ELb0ELj100EEvPKT0_PS1_,comdat
	.protected	_Z6kernelI10flag_tailsxLj256ELj1ELb0ELj100EEvPKT0_PS1_ ; -- Begin function _Z6kernelI10flag_tailsxLj256ELj1ELb0ELj100EEvPKT0_PS1_
	.globl	_Z6kernelI10flag_tailsxLj256ELj1ELb0ELj100EEvPKT0_PS1_
	.p2align	8
	.type	_Z6kernelI10flag_tailsxLj256ELj1ELb0ELj100EEvPKT0_PS1_,@function
_Z6kernelI10flag_tailsxLj256ELj1ELb0ELj100EEvPKT0_PS1_: ; @_Z6kernelI10flag_tailsxLj256ELj1ELb0ELj100EEvPKT0_PS1_
; %bb.0:
	s_load_dwordx4 s[4:7], s[0:1], 0x0
	s_lshl_b32 s2, s2, 8
	s_mov_b32 s3, 0
	s_lshl_b64 s[8:9], s[2:3], 3
	v_lshlrev_b32_e32 v1, 3, v0
	s_waitcnt lgkmcnt(0)
	s_add_u32 s0, s4, s8
	s_addc_u32 s1, s5, s9
	global_load_dwordx2 v[2:3], v1, s[0:1]
	s_movk_i32 s0, 0xff
	v_cmp_ne_u32_e32 vcc, s0, v0
	v_or_b32_e32 v6, 0x800, v1
	s_movk_i32 s2, 0x64
	s_branch .LBB70_2
.LBB70_1:                               ;   in Loop: Header=BB70_2 Depth=1
	s_or_b64 exec, exec, s[4:5]
	s_add_i32 s2, s2, -1
	v_lshl_add_u64 v[2:3], v[4:5], 0, v[2:3]
	s_cmp_lg_u32 s2, 0
	s_barrier
	s_cbranch_scc0 .LBB70_4
.LBB70_2:                               ; =>This Inner Loop Header: Depth=1
	v_mov_b64_e32 v[4:5], 1
	s_waitcnt vmcnt(0)
	ds_write_b64 v1, v[2:3] offset:2048
	s_waitcnt lgkmcnt(0)
	s_barrier
	s_and_saveexec_b64 s[4:5], vcc
	s_cbranch_execz .LBB70_1
; %bb.3:                                ;   in Loop: Header=BB70_2 Depth=1
	ds_read_b64 v[4:5], v6 offset:8
	s_waitcnt lgkmcnt(0)
	v_cmp_eq_u64_e64 s[0:1], v[2:3], v[4:5]
	s_nop 1
	v_cndmask_b32_e64 v4, 0, 1, s[0:1]
	v_mov_b32_e32 v5, s3
	s_branch .LBB70_1
.LBB70_4:
	s_add_u32 s0, s6, s8
	s_addc_u32 s1, s7, s9
	v_lshlrev_b32_e32 v0, 3, v0
	global_store_dwordx2 v0, v[2:3], s[0:1]
	s_endpgm
	.section	.rodata,"a",@progbits
	.p2align	6, 0x0
	.amdhsa_kernel _Z6kernelI10flag_tailsxLj256ELj1ELb0ELj100EEvPKT0_PS1_
		.amdhsa_group_segment_fixed_size 4096
		.amdhsa_private_segment_fixed_size 0
		.amdhsa_kernarg_size 16
		.amdhsa_user_sgpr_count 2
		.amdhsa_user_sgpr_dispatch_ptr 0
		.amdhsa_user_sgpr_queue_ptr 0
		.amdhsa_user_sgpr_kernarg_segment_ptr 1
		.amdhsa_user_sgpr_dispatch_id 0
		.amdhsa_user_sgpr_kernarg_preload_length 0
		.amdhsa_user_sgpr_kernarg_preload_offset 0
		.amdhsa_user_sgpr_private_segment_size 0
		.amdhsa_uses_dynamic_stack 0
		.amdhsa_enable_private_segment 0
		.amdhsa_system_sgpr_workgroup_id_x 1
		.amdhsa_system_sgpr_workgroup_id_y 0
		.amdhsa_system_sgpr_workgroup_id_z 0
		.amdhsa_system_sgpr_workgroup_info 0
		.amdhsa_system_vgpr_workitem_id 0
		.amdhsa_next_free_vgpr 7
		.amdhsa_next_free_sgpr 10
		.amdhsa_accum_offset 8
		.amdhsa_reserve_vcc 1
		.amdhsa_float_round_mode_32 0
		.amdhsa_float_round_mode_16_64 0
		.amdhsa_float_denorm_mode_32 3
		.amdhsa_float_denorm_mode_16_64 3
		.amdhsa_dx10_clamp 1
		.amdhsa_ieee_mode 1
		.amdhsa_fp16_overflow 0
		.amdhsa_tg_split 0
		.amdhsa_exception_fp_ieee_invalid_op 0
		.amdhsa_exception_fp_denorm_src 0
		.amdhsa_exception_fp_ieee_div_zero 0
		.amdhsa_exception_fp_ieee_overflow 0
		.amdhsa_exception_fp_ieee_underflow 0
		.amdhsa_exception_fp_ieee_inexact 0
		.amdhsa_exception_int_div_zero 0
	.end_amdhsa_kernel
	.section	.text._Z6kernelI10flag_tailsxLj256ELj1ELb0ELj100EEvPKT0_PS1_,"axG",@progbits,_Z6kernelI10flag_tailsxLj256ELj1ELb0ELj100EEvPKT0_PS1_,comdat
.Lfunc_end70:
	.size	_Z6kernelI10flag_tailsxLj256ELj1ELb0ELj100EEvPKT0_PS1_, .Lfunc_end70-_Z6kernelI10flag_tailsxLj256ELj1ELb0ELj100EEvPKT0_PS1_
                                        ; -- End function
	.section	.AMDGPU.csdata,"",@progbits
; Kernel info:
; codeLenInByte = 192
; NumSgprs: 16
; NumVgprs: 7
; NumAgprs: 0
; TotalNumVgprs: 7
; ScratchSize: 0
; MemoryBound: 0
; FloatMode: 240
; IeeeMode: 1
; LDSByteSize: 4096 bytes/workgroup (compile time only)
; SGPRBlocks: 1
; VGPRBlocks: 0
; NumSGPRsForWavesPerEU: 16
; NumVGPRsForWavesPerEU: 7
; AccumOffset: 8
; Occupancy: 8
; WaveLimiterHint : 0
; COMPUTE_PGM_RSRC2:SCRATCH_EN: 0
; COMPUTE_PGM_RSRC2:USER_SGPR: 2
; COMPUTE_PGM_RSRC2:TRAP_HANDLER: 0
; COMPUTE_PGM_RSRC2:TGID_X_EN: 1
; COMPUTE_PGM_RSRC2:TGID_Y_EN: 0
; COMPUTE_PGM_RSRC2:TGID_Z_EN: 0
; COMPUTE_PGM_RSRC2:TIDIG_COMP_CNT: 0
; COMPUTE_PGM_RSRC3_GFX90A:ACCUM_OFFSET: 1
; COMPUTE_PGM_RSRC3_GFX90A:TG_SPLIT: 0
	.section	.text._Z6kernelI10flag_tailsxLj256ELj2ELb0ELj100EEvPKT0_PS1_,"axG",@progbits,_Z6kernelI10flag_tailsxLj256ELj2ELb0ELj100EEvPKT0_PS1_,comdat
	.protected	_Z6kernelI10flag_tailsxLj256ELj2ELb0ELj100EEvPKT0_PS1_ ; -- Begin function _Z6kernelI10flag_tailsxLj256ELj2ELb0ELj100EEvPKT0_PS1_
	.globl	_Z6kernelI10flag_tailsxLj256ELj2ELb0ELj100EEvPKT0_PS1_
	.p2align	8
	.type	_Z6kernelI10flag_tailsxLj256ELj2ELb0ELj100EEvPKT0_PS1_,@function
_Z6kernelI10flag_tailsxLj256ELj2ELb0ELj100EEvPKT0_PS1_: ; @_Z6kernelI10flag_tailsxLj256ELj2ELb0ELj100EEvPKT0_PS1_
; %bb.0:
	s_load_dwordx4 s[4:7], s[0:1], 0x0
	s_lshl_b32 s0, s2, 9
	s_mov_b32 s1, 0
	s_lshl_b64 s[2:3], s[0:1], 3
	v_lshlrev_b32_e32 v1, 3, v0
	s_waitcnt lgkmcnt(0)
	s_add_u32 s0, s4, s2
	s_addc_u32 s1, s5, s3
	global_load_dwordx2 v[2:3], v1, s[0:1]
	global_load_dwordx2 v[4:5], v1, s[0:1] offset:2048
	s_movk_i32 s0, 0xff
	v_mov_b32_e32 v7, 0
	v_cmp_ne_u32_e32 vcc, s0, v0
	v_or_b32_e32 v8, 0x800, v1
	s_movk_i32 s8, 0x64
	s_branch .LBB71_2
.LBB71_1:                               ;   in Loop: Header=BB71_2 Depth=1
	s_or_b64 exec, exec, s[4:5]
	v_and_b32_e32 v6, 0xff, v9
	v_lshl_add_u64 v[2:3], v[2:3], 0, v[6:7]
	v_lshrrev_b16_e32 v6, 8, v9
	s_add_i32 s8, s8, -1
	v_lshl_add_u64 v[4:5], v[4:5], 0, v[6:7]
	s_cmp_lg_u32 s8, 0
	s_barrier
	s_cbranch_scc0 .LBB71_4
.LBB71_2:                               ; =>This Inner Loop Header: Depth=1
	s_waitcnt vmcnt(0)
	v_cmp_eq_u64_e64 s[0:1], v[2:3], v[4:5]
	ds_write_b64 v1, v[2:3] offset:2048
	s_waitcnt lgkmcnt(0)
	v_cndmask_b32_e64 v6, 0, 1, s[0:1]
	v_or_b32_e32 v6, 0x100, v6
	v_and_b32_e32 v9, 0xffff, v6
	s_barrier
	s_and_saveexec_b64 s[4:5], vcc
	s_cbranch_execz .LBB71_1
; %bb.3:                                ;   in Loop: Header=BB71_2 Depth=1
	ds_read_b64 v[10:11], v8 offset:8
	s_waitcnt lgkmcnt(0)
	v_cmp_eq_u64_e64 s[0:1], v[4:5], v[10:11]
	s_nop 1
	v_cndmask_b32_e64 v6, 0, 1, s[0:1]
	v_lshlrev_b16_e32 v6, 8, v6
	v_or_b32_sdwa v6, v9, v6 dst_sel:DWORD dst_unused:UNUSED_PAD src0_sel:BYTE_0 src1_sel:DWORD
	v_and_b32_e32 v9, 0xffff, v6
	s_branch .LBB71_1
.LBB71_4:
	s_add_u32 s0, s6, s2
	s_addc_u32 s1, s7, s3
	v_lshlrev_b32_e32 v0, 3, v0
	global_store_dwordx2 v0, v[2:3], s[0:1]
	global_store_dwordx2 v0, v[4:5], s[0:1] offset:2048
	s_endpgm
	.section	.rodata,"a",@progbits
	.p2align	6, 0x0
	.amdhsa_kernel _Z6kernelI10flag_tailsxLj256ELj2ELb0ELj100EEvPKT0_PS1_
		.amdhsa_group_segment_fixed_size 4096
		.amdhsa_private_segment_fixed_size 0
		.amdhsa_kernarg_size 16
		.amdhsa_user_sgpr_count 2
		.amdhsa_user_sgpr_dispatch_ptr 0
		.amdhsa_user_sgpr_queue_ptr 0
		.amdhsa_user_sgpr_kernarg_segment_ptr 1
		.amdhsa_user_sgpr_dispatch_id 0
		.amdhsa_user_sgpr_kernarg_preload_length 0
		.amdhsa_user_sgpr_kernarg_preload_offset 0
		.amdhsa_user_sgpr_private_segment_size 0
		.amdhsa_uses_dynamic_stack 0
		.amdhsa_enable_private_segment 0
		.amdhsa_system_sgpr_workgroup_id_x 1
		.amdhsa_system_sgpr_workgroup_id_y 0
		.amdhsa_system_sgpr_workgroup_id_z 0
		.amdhsa_system_sgpr_workgroup_info 0
		.amdhsa_system_vgpr_workitem_id 0
		.amdhsa_next_free_vgpr 12
		.amdhsa_next_free_sgpr 9
		.amdhsa_accum_offset 12
		.amdhsa_reserve_vcc 1
		.amdhsa_float_round_mode_32 0
		.amdhsa_float_round_mode_16_64 0
		.amdhsa_float_denorm_mode_32 3
		.amdhsa_float_denorm_mode_16_64 3
		.amdhsa_dx10_clamp 1
		.amdhsa_ieee_mode 1
		.amdhsa_fp16_overflow 0
		.amdhsa_tg_split 0
		.amdhsa_exception_fp_ieee_invalid_op 0
		.amdhsa_exception_fp_denorm_src 0
		.amdhsa_exception_fp_ieee_div_zero 0
		.amdhsa_exception_fp_ieee_overflow 0
		.amdhsa_exception_fp_ieee_underflow 0
		.amdhsa_exception_fp_ieee_inexact 0
		.amdhsa_exception_int_div_zero 0
	.end_amdhsa_kernel
	.section	.text._Z6kernelI10flag_tailsxLj256ELj2ELb0ELj100EEvPKT0_PS1_,"axG",@progbits,_Z6kernelI10flag_tailsxLj256ELj2ELb0ELj100EEvPKT0_PS1_,comdat
.Lfunc_end71:
	.size	_Z6kernelI10flag_tailsxLj256ELj2ELb0ELj100EEvPKT0_PS1_, .Lfunc_end71-_Z6kernelI10flag_tailsxLj256ELj2ELb0ELj100EEvPKT0_PS1_
                                        ; -- End function
	.section	.AMDGPU.csdata,"",@progbits
; Kernel info:
; codeLenInByte = 276
; NumSgprs: 15
; NumVgprs: 12
; NumAgprs: 0
; TotalNumVgprs: 12
; ScratchSize: 0
; MemoryBound: 0
; FloatMode: 240
; IeeeMode: 1
; LDSByteSize: 4096 bytes/workgroup (compile time only)
; SGPRBlocks: 1
; VGPRBlocks: 1
; NumSGPRsForWavesPerEU: 15
; NumVGPRsForWavesPerEU: 12
; AccumOffset: 12
; Occupancy: 8
; WaveLimiterHint : 1
; COMPUTE_PGM_RSRC2:SCRATCH_EN: 0
; COMPUTE_PGM_RSRC2:USER_SGPR: 2
; COMPUTE_PGM_RSRC2:TRAP_HANDLER: 0
; COMPUTE_PGM_RSRC2:TGID_X_EN: 1
; COMPUTE_PGM_RSRC2:TGID_Y_EN: 0
; COMPUTE_PGM_RSRC2:TGID_Z_EN: 0
; COMPUTE_PGM_RSRC2:TIDIG_COMP_CNT: 0
; COMPUTE_PGM_RSRC3_GFX90A:ACCUM_OFFSET: 2
; COMPUTE_PGM_RSRC3_GFX90A:TG_SPLIT: 0
	.section	.text._Z6kernelI10flag_tailsxLj256ELj3ELb0ELj100EEvPKT0_PS1_,"axG",@progbits,_Z6kernelI10flag_tailsxLj256ELj3ELb0ELj100EEvPKT0_PS1_,comdat
	.protected	_Z6kernelI10flag_tailsxLj256ELj3ELb0ELj100EEvPKT0_PS1_ ; -- Begin function _Z6kernelI10flag_tailsxLj256ELj3ELb0ELj100EEvPKT0_PS1_
	.globl	_Z6kernelI10flag_tailsxLj256ELj3ELb0ELj100EEvPKT0_PS1_
	.p2align	8
	.type	_Z6kernelI10flag_tailsxLj256ELj3ELb0ELj100EEvPKT0_PS1_,@function
_Z6kernelI10flag_tailsxLj256ELj3ELb0ELj100EEvPKT0_PS1_: ; @_Z6kernelI10flag_tailsxLj256ELj3ELb0ELj100EEvPKT0_PS1_
; %bb.0:
	s_load_dwordx4 s[4:7], s[0:1], 0x0
	s_mul_i32 s0, s2, 0x300
	s_mov_b32 s1, 0
	s_lshl_b64 s[2:3], s[0:1], 3
	v_mov_b32_e32 v7, 0
	s_waitcnt lgkmcnt(0)
	s_add_u32 s0, s4, s2
	s_addc_u32 s1, s5, s3
	v_lshlrev_b32_e32 v10, 3, v0
	v_mov_b32_e32 v11, v7
	v_lshl_add_u64 v[4:5], s[0:1], 0, v[10:11]
	s_movk_i32 s4, 0x1000
	v_add_co_u32_e32 v12, vcc, s4, v4
	global_load_dwordx2 v[2:3], v10, s[0:1] offset:2048
	s_nop 0
	v_addc_co_u32_e32 v13, vcc, 0, v5, vcc
	global_load_dwordx2 v[8:9], v10, s[0:1]
	global_load_dwordx2 v[4:5], v[12:13], off
	s_movk_i32 s0, 0xff
	v_cmp_ne_u32_e32 vcc, s0, v0
	v_or_b32_e32 v1, 0x800, v10
	s_movk_i32 s8, 0x64
	s_mov_b32 s9, 0x10000
	v_mov_b32_e32 v11, 8
	s_branch .LBB72_2
.LBB72_1:                               ;   in Loop: Header=BB72_2 Depth=1
	s_or_b64 exec, exec, s[4:5]
	v_and_b32_e32 v6, 0xff, v12
	v_lshrrev_b32_e32 v14, 16, v12
	v_lshl_add_u64 v[8:9], v[8:9], 0, v[6:7]
	v_bfe_u32 v6, v12, 8, 8
	v_mov_b32_e32 v15, v7
	s_add_i32 s8, s8, -1
	v_lshl_add_u64 v[2:3], v[2:3], 0, v[6:7]
	v_lshl_add_u64 v[4:5], v[4:5], 0, v[14:15]
	s_cmp_lg_u32 s8, 0
	s_barrier
	s_cbranch_scc0 .LBB72_4
.LBB72_2:                               ; =>This Inner Loop Header: Depth=1
	s_waitcnt vmcnt(1)
	v_cmp_eq_u64_e64 s[0:1], v[8:9], v[2:3]
	ds_write_b64 v10, v[8:9] offset:2048
	s_waitcnt lgkmcnt(0)
	v_cndmask_b32_e64 v6, 0, 1, s[0:1]
	s_waitcnt vmcnt(0)
	v_cmp_eq_u64_e64 s[0:1], v[2:3], v[4:5]
	s_barrier
	s_nop 0
	v_cndmask_b32_e64 v12, 0, 1, s[0:1]
	v_lshlrev_b16_e32 v12, 8, v12
	v_or_b32_e32 v6, v6, v12
	v_or_b32_sdwa v12, v6, s9 dst_sel:DWORD dst_unused:UNUSED_PAD src0_sel:WORD_0 src1_sel:DWORD
	s_and_saveexec_b64 s[4:5], vcc
	s_cbranch_execz .LBB72_1
; %bb.3:                                ;   in Loop: Header=BB72_2 Depth=1
	ds_read_b64 v[14:15], v1 offset:8
	v_lshrrev_b32_sdwa v6, v11, v12 dst_sel:BYTE_1 dst_unused:UNUSED_PAD src0_sel:DWORD src1_sel:DWORD
	s_waitcnt lgkmcnt(0)
	v_cmp_eq_u64_e64 s[0:1], v[4:5], v[14:15]
	v_or_b32_sdwa v6, v12, v6 dst_sel:DWORD dst_unused:UNUSED_PAD src0_sel:BYTE_0 src1_sel:DWORD
	v_and_b32_e32 v6, 0xffff, v6
	v_cndmask_b32_e64 v12, 0, 1, s[0:1]
	v_lshl_or_b32 v12, v12, 16, v6
	s_branch .LBB72_1
.LBB72_4:
	s_add_u32 s0, s6, s2
	s_addc_u32 s1, s7, s3
	v_lshlrev_b32_e32 v0, 3, v0
	v_mov_b32_e32 v1, 0
	v_lshl_add_u64 v[6:7], s[0:1], 0, v[0:1]
	global_store_dwordx2 v0, v[8:9], s[0:1]
	global_store_dwordx2 v0, v[2:3], s[0:1] offset:2048
	v_add_co_u32_e32 v0, vcc, 0x1000, v6
	s_nop 1
	v_addc_co_u32_e32 v1, vcc, 0, v7, vcc
	global_store_dwordx2 v[0:1], v[4:5], off
	s_endpgm
	.section	.rodata,"a",@progbits
	.p2align	6, 0x0
	.amdhsa_kernel _Z6kernelI10flag_tailsxLj256ELj3ELb0ELj100EEvPKT0_PS1_
		.amdhsa_group_segment_fixed_size 4096
		.amdhsa_private_segment_fixed_size 0
		.amdhsa_kernarg_size 16
		.amdhsa_user_sgpr_count 2
		.amdhsa_user_sgpr_dispatch_ptr 0
		.amdhsa_user_sgpr_queue_ptr 0
		.amdhsa_user_sgpr_kernarg_segment_ptr 1
		.amdhsa_user_sgpr_dispatch_id 0
		.amdhsa_user_sgpr_kernarg_preload_length 0
		.amdhsa_user_sgpr_kernarg_preload_offset 0
		.amdhsa_user_sgpr_private_segment_size 0
		.amdhsa_uses_dynamic_stack 0
		.amdhsa_enable_private_segment 0
		.amdhsa_system_sgpr_workgroup_id_x 1
		.amdhsa_system_sgpr_workgroup_id_y 0
		.amdhsa_system_sgpr_workgroup_id_z 0
		.amdhsa_system_sgpr_workgroup_info 0
		.amdhsa_system_vgpr_workitem_id 0
		.amdhsa_next_free_vgpr 16
		.amdhsa_next_free_sgpr 10
		.amdhsa_accum_offset 16
		.amdhsa_reserve_vcc 1
		.amdhsa_float_round_mode_32 0
		.amdhsa_float_round_mode_16_64 0
		.amdhsa_float_denorm_mode_32 3
		.amdhsa_float_denorm_mode_16_64 3
		.amdhsa_dx10_clamp 1
		.amdhsa_ieee_mode 1
		.amdhsa_fp16_overflow 0
		.amdhsa_tg_split 0
		.amdhsa_exception_fp_ieee_invalid_op 0
		.amdhsa_exception_fp_denorm_src 0
		.amdhsa_exception_fp_ieee_div_zero 0
		.amdhsa_exception_fp_ieee_overflow 0
		.amdhsa_exception_fp_ieee_underflow 0
		.amdhsa_exception_fp_ieee_inexact 0
		.amdhsa_exception_int_div_zero 0
	.end_amdhsa_kernel
	.section	.text._Z6kernelI10flag_tailsxLj256ELj3ELb0ELj100EEvPKT0_PS1_,"axG",@progbits,_Z6kernelI10flag_tailsxLj256ELj3ELb0ELj100EEvPKT0_PS1_,comdat
.Lfunc_end72:
	.size	_Z6kernelI10flag_tailsxLj256ELj3ELb0ELj100EEvPKT0_PS1_, .Lfunc_end72-_Z6kernelI10flag_tailsxLj256ELj3ELb0ELj100EEvPKT0_PS1_
                                        ; -- End function
	.section	.AMDGPU.csdata,"",@progbits
; Kernel info:
; codeLenInByte = 416
; NumSgprs: 16
; NumVgprs: 16
; NumAgprs: 0
; TotalNumVgprs: 16
; ScratchSize: 0
; MemoryBound: 0
; FloatMode: 240
; IeeeMode: 1
; LDSByteSize: 4096 bytes/workgroup (compile time only)
; SGPRBlocks: 1
; VGPRBlocks: 1
; NumSGPRsForWavesPerEU: 16
; NumVGPRsForWavesPerEU: 16
; AccumOffset: 16
; Occupancy: 8
; WaveLimiterHint : 1
; COMPUTE_PGM_RSRC2:SCRATCH_EN: 0
; COMPUTE_PGM_RSRC2:USER_SGPR: 2
; COMPUTE_PGM_RSRC2:TRAP_HANDLER: 0
; COMPUTE_PGM_RSRC2:TGID_X_EN: 1
; COMPUTE_PGM_RSRC2:TGID_Y_EN: 0
; COMPUTE_PGM_RSRC2:TGID_Z_EN: 0
; COMPUTE_PGM_RSRC2:TIDIG_COMP_CNT: 0
; COMPUTE_PGM_RSRC3_GFX90A:ACCUM_OFFSET: 3
; COMPUTE_PGM_RSRC3_GFX90A:TG_SPLIT: 0
	.section	.text._Z6kernelI10flag_tailsxLj256ELj4ELb0ELj100EEvPKT0_PS1_,"axG",@progbits,_Z6kernelI10flag_tailsxLj256ELj4ELb0ELj100EEvPKT0_PS1_,comdat
	.protected	_Z6kernelI10flag_tailsxLj256ELj4ELb0ELj100EEvPKT0_PS1_ ; -- Begin function _Z6kernelI10flag_tailsxLj256ELj4ELb0ELj100EEvPKT0_PS1_
	.globl	_Z6kernelI10flag_tailsxLj256ELj4ELb0ELj100EEvPKT0_PS1_
	.p2align	8
	.type	_Z6kernelI10flag_tailsxLj256ELj4ELb0ELj100EEvPKT0_PS1_,@function
_Z6kernelI10flag_tailsxLj256ELj4ELb0ELj100EEvPKT0_PS1_: ; @_Z6kernelI10flag_tailsxLj256ELj4ELb0ELj100EEvPKT0_PS1_
; %bb.0:
	s_load_dwordx4 s[4:7], s[0:1], 0x0
	s_lshl_b32 s2, s2, 10
	s_mov_b32 s3, 0
	s_lshl_b64 s[8:9], s[2:3], 3
	v_mov_b32_e32 v9, 0
	s_waitcnt lgkmcnt(0)
	s_add_u32 s0, s4, s8
	s_addc_u32 s1, s5, s9
	v_lshlrev_b32_e32 v8, 3, v0
	v_lshl_add_u64 v[4:5], s[0:1], 0, v[8:9]
	v_add_co_u32_e32 v12, vcc, 0x1000, v4
	global_load_dwordx2 v[2:3], v8, s[0:1] offset:2048
	s_nop 0
	v_addc_co_u32_e32 v13, vcc, 0, v5, vcc
	global_load_dwordx2 v[4:5], v[12:13], off
	global_load_dwordx2 v[10:11], v8, s[0:1]
	global_load_dwordx2 v[6:7], v[12:13], off offset:2048
	s_movk_i32 s0, 0xff
	v_cmp_ne_u32_e32 vcc, s0, v0
	v_or_b32_e32 v1, 0x800, v8
	s_movk_i32 s2, 0x64
	s_branch .LBB73_2
.LBB73_1:                               ;   in Loop: Header=BB73_2 Depth=1
	s_or_b64 exec, exec, s[4:5]
	v_cmp_eq_u64_e64 s[0:1], v[10:11], v[2:3]
	v_mov_b32_e32 v15, s3
	s_add_i32 s2, s2, -1
	v_cndmask_b32_e64 v14, 0, 1, s[0:1]
	v_cmp_eq_u64_e64 s[0:1], v[2:3], v[4:5]
	v_lshl_add_u64 v[10:11], v[10:11], 0, v[14:15]
	s_cmp_lg_u32 s2, 0
	v_cndmask_b32_e64 v14, 0, 1, s[0:1]
	s_waitcnt vmcnt(0)
	v_cmp_eq_u64_e64 s[0:1], v[4:5], v[6:7]
	v_lshl_add_u64 v[2:3], v[2:3], 0, v[14:15]
	v_lshl_add_u64 v[6:7], v[12:13], 0, v[6:7]
	v_cndmask_b32_e64 v14, 0, 1, s[0:1]
	v_lshl_add_u64 v[4:5], v[4:5], 0, v[14:15]
	s_barrier
	s_cbranch_scc0 .LBB73_4
.LBB73_2:                               ; =>This Inner Loop Header: Depth=1
	v_mov_b64_e32 v[12:13], 1
	s_waitcnt vmcnt(1)
	ds_write_b64 v8, v[10:11] offset:2048
	s_waitcnt lgkmcnt(0)
	s_barrier
	s_and_saveexec_b64 s[4:5], vcc
	s_cbranch_execz .LBB73_1
; %bb.3:                                ;   in Loop: Header=BB73_2 Depth=1
	ds_read_b64 v[12:13], v1 offset:8
	s_waitcnt vmcnt(0) lgkmcnt(0)
	v_cmp_eq_u64_e64 s[0:1], v[6:7], v[12:13]
	s_nop 1
	v_cndmask_b32_e64 v12, 0, 1, s[0:1]
	v_mov_b32_e32 v13, s3
	s_branch .LBB73_1
.LBB73_4:
	s_add_u32 s0, s6, s8
	s_addc_u32 s1, s7, s9
	v_lshlrev_b32_e32 v0, 3, v0
	v_mov_b32_e32 v1, 0
	v_lshl_add_u64 v[8:9], s[0:1], 0, v[0:1]
	global_store_dwordx2 v0, v[10:11], s[0:1]
	global_store_dwordx2 v0, v[2:3], s[0:1] offset:2048
	v_add_co_u32_e32 v0, vcc, 0x1000, v8
	s_nop 1
	v_addc_co_u32_e32 v1, vcc, 0, v9, vcc
	global_store_dwordx2 v[0:1], v[4:5], off
	global_store_dwordx2 v[0:1], v[6:7], off offset:2048
	s_endpgm
	.section	.rodata,"a",@progbits
	.p2align	6, 0x0
	.amdhsa_kernel _Z6kernelI10flag_tailsxLj256ELj4ELb0ELj100EEvPKT0_PS1_
		.amdhsa_group_segment_fixed_size 4096
		.amdhsa_private_segment_fixed_size 0
		.amdhsa_kernarg_size 16
		.amdhsa_user_sgpr_count 2
		.amdhsa_user_sgpr_dispatch_ptr 0
		.amdhsa_user_sgpr_queue_ptr 0
		.amdhsa_user_sgpr_kernarg_segment_ptr 1
		.amdhsa_user_sgpr_dispatch_id 0
		.amdhsa_user_sgpr_kernarg_preload_length 0
		.amdhsa_user_sgpr_kernarg_preload_offset 0
		.amdhsa_user_sgpr_private_segment_size 0
		.amdhsa_uses_dynamic_stack 0
		.amdhsa_enable_private_segment 0
		.amdhsa_system_sgpr_workgroup_id_x 1
		.amdhsa_system_sgpr_workgroup_id_y 0
		.amdhsa_system_sgpr_workgroup_id_z 0
		.amdhsa_system_sgpr_workgroup_info 0
		.amdhsa_system_vgpr_workitem_id 0
		.amdhsa_next_free_vgpr 16
		.amdhsa_next_free_sgpr 10
		.amdhsa_accum_offset 16
		.amdhsa_reserve_vcc 1
		.amdhsa_float_round_mode_32 0
		.amdhsa_float_round_mode_16_64 0
		.amdhsa_float_denorm_mode_32 3
		.amdhsa_float_denorm_mode_16_64 3
		.amdhsa_dx10_clamp 1
		.amdhsa_ieee_mode 1
		.amdhsa_fp16_overflow 0
		.amdhsa_tg_split 0
		.amdhsa_exception_fp_ieee_invalid_op 0
		.amdhsa_exception_fp_denorm_src 0
		.amdhsa_exception_fp_ieee_div_zero 0
		.amdhsa_exception_fp_ieee_overflow 0
		.amdhsa_exception_fp_ieee_underflow 0
		.amdhsa_exception_fp_ieee_inexact 0
		.amdhsa_exception_int_div_zero 0
	.end_amdhsa_kernel
	.section	.text._Z6kernelI10flag_tailsxLj256ELj4ELb0ELj100EEvPKT0_PS1_,"axG",@progbits,_Z6kernelI10flag_tailsxLj256ELj4ELb0ELj100EEvPKT0_PS1_,comdat
.Lfunc_end73:
	.size	_Z6kernelI10flag_tailsxLj256ELj4ELb0ELj100EEvPKT0_PS1_, .Lfunc_end73-_Z6kernelI10flag_tailsxLj256ELj4ELb0ELj100EEvPKT0_PS1_
                                        ; -- End function
	.section	.AMDGPU.csdata,"",@progbits
; Kernel info:
; codeLenInByte = 376
; NumSgprs: 16
; NumVgprs: 16
; NumAgprs: 0
; TotalNumVgprs: 16
; ScratchSize: 0
; MemoryBound: 0
; FloatMode: 240
; IeeeMode: 1
; LDSByteSize: 4096 bytes/workgroup (compile time only)
; SGPRBlocks: 1
; VGPRBlocks: 1
; NumSGPRsForWavesPerEU: 16
; NumVGPRsForWavesPerEU: 16
; AccumOffset: 16
; Occupancy: 8
; WaveLimiterHint : 1
; COMPUTE_PGM_RSRC2:SCRATCH_EN: 0
; COMPUTE_PGM_RSRC2:USER_SGPR: 2
; COMPUTE_PGM_RSRC2:TRAP_HANDLER: 0
; COMPUTE_PGM_RSRC2:TGID_X_EN: 1
; COMPUTE_PGM_RSRC2:TGID_Y_EN: 0
; COMPUTE_PGM_RSRC2:TGID_Z_EN: 0
; COMPUTE_PGM_RSRC2:TIDIG_COMP_CNT: 0
; COMPUTE_PGM_RSRC3_GFX90A:ACCUM_OFFSET: 3
; COMPUTE_PGM_RSRC3_GFX90A:TG_SPLIT: 0
	.section	.text._Z6kernelI10flag_tailsxLj256ELj8ELb0ELj100EEvPKT0_PS1_,"axG",@progbits,_Z6kernelI10flag_tailsxLj256ELj8ELb0ELj100EEvPKT0_PS1_,comdat
	.protected	_Z6kernelI10flag_tailsxLj256ELj8ELb0ELj100EEvPKT0_PS1_ ; -- Begin function _Z6kernelI10flag_tailsxLj256ELj8ELb0ELj100EEvPKT0_PS1_
	.globl	_Z6kernelI10flag_tailsxLj256ELj8ELb0ELj100EEvPKT0_PS1_
	.p2align	8
	.type	_Z6kernelI10flag_tailsxLj256ELj8ELb0ELj100EEvPKT0_PS1_,@function
_Z6kernelI10flag_tailsxLj256ELj8ELb0ELj100EEvPKT0_PS1_: ; @_Z6kernelI10flag_tailsxLj256ELj8ELb0ELj100EEvPKT0_PS1_
; %bb.0:
	s_load_dwordx4 s[4:7], s[0:1], 0x0
	s_lshl_b32 s0, s2, 11
	s_mov_b32 s1, 0
	s_lshl_b64 s[2:3], s[0:1], 3
	v_mov_b32_e32 v9, 0
	s_waitcnt lgkmcnt(0)
	s_add_u32 s0, s4, s2
	s_addc_u32 s1, s5, s3
	v_lshlrev_b32_e32 v14, 3, v0
	v_mov_b32_e32 v15, v9
	v_lshl_add_u64 v[6:7], s[0:1], 0, v[14:15]
	s_movk_i32 s4, 0x1000
	v_add_co_u32_e32 v22, vcc, s4, v6
	s_movk_i32 s4, 0x2000
	s_nop 0
	v_addc_co_u32_e32 v23, vcc, 0, v7, vcc
	v_add_co_u32_e32 v10, vcc, s4, v6
	s_movk_i32 s4, 0x3000
	s_nop 0
	v_addc_co_u32_e32 v11, vcc, 0, v7, vcc
	v_add_co_u32_e32 v24, vcc, s4, v6
	global_load_dwordx2 v[16:17], v14, s[0:1] offset:2048
	global_load_dwordx2 v[12:13], v[10:11], off offset:-4096
	global_load_dwordx2 v[4:5], v[10:11], off
	global_load_dwordx2 v[2:3], v[10:11], off offset:2048
	v_addc_co_u32_e32 v25, vcc, 0, v7, vcc
	global_load_dwordx2 v[18:19], v[22:23], off offset:2048
	global_load_dwordx2 v[6:7], v[24:25], off
	global_load_dwordx2 v[20:21], v14, s[0:1]
	global_load_dwordx2 v[10:11], v[24:25], off offset:2048
	s_movk_i32 s8, 0xff
	v_cmp_ne_u32_e32 vcc, s8, v0
	v_or_b32_e32 v1, 0x800, v14
	s_movk_i32 s9, 0x64
	s_movk_i32 s10, 0x100
	s_mov_b32 s11, 0x3020104
	v_mov_b32_e32 v15, 8
	s_branch .LBB74_2
.LBB74_1:                               ;   in Loop: Header=BB74_2 Depth=1
	s_or_b64 exec, exec, s[4:5]
	v_and_b32_e32 v8, 0xff, v23
	v_lshl_add_u64 v[20:21], v[20:21], 0, v[8:9]
	v_bfe_u32 v8, v23, 8, 8
	v_lshl_add_u64 v[16:17], v[16:17], 0, v[8:9]
	v_bfe_u32 v8, v23, 16, 8
	v_lshl_add_u64 v[12:13], v[12:13], 0, v[8:9]
	v_lshrrev_b32_e32 v8, 24, v23
	v_lshl_add_u64 v[18:19], v[18:19], 0, v[8:9]
	v_and_b32_e32 v8, 0xff, v22
	v_lshl_add_u64 v[4:5], v[4:5], 0, v[8:9]
	v_bfe_u32 v8, v22, 8, 8
	v_lshl_add_u64 v[2:3], v[2:3], 0, v[8:9]
	v_bfe_u32 v8, v22, 16, 8
	v_lshl_add_u64 v[6:7], v[6:7], 0, v[8:9]
	v_lshrrev_b32_e32 v8, 24, v22
	s_add_i32 s9, s9, -1
	v_lshl_add_u64 v[10:11], v[10:11], 0, v[8:9]
	s_cmp_lg_u32 s9, 0
	s_barrier
	s_cbranch_scc0 .LBB74_4
.LBB74_2:                               ; =>This Inner Loop Header: Depth=1
	s_waitcnt vmcnt(1)
	v_cmp_eq_u64_e64 s[0:1], v[20:21], v[16:17]
	ds_write_b64 v14, v[20:21] offset:2048
	s_waitcnt lgkmcnt(0)
	v_cndmask_b32_e64 v8, 0, 1, s[0:1]
	v_cmp_eq_u64_e64 s[0:1], v[16:17], v[12:13]
	s_barrier
	s_nop 0
	v_cndmask_b32_e64 v22, 0, 1, s[0:1]
	v_cmp_eq_u64_e64 s[0:1], v[12:13], v[18:19]
	v_lshlrev_b16_e32 v22, 8, v22
	v_or_b32_e32 v8, v8, v22
	v_cndmask_b32_e64 v23, 0, 1, s[0:1]
	v_cmp_eq_u64_e64 s[0:1], v[18:19], v[4:5]
	s_nop 1
	v_cndmask_b32_e64 v24, 0, 1, s[0:1]
	v_cmp_eq_u64_e64 s[0:1], v[4:5], v[2:3]
	v_lshlrev_b16_e32 v22, 8, v24
	v_or_b32_sdwa v22, v23, v22 dst_sel:WORD_1 dst_unused:UNUSED_PAD src0_sel:DWORD src1_sel:DWORD
	v_cndmask_b32_e64 v25, 0, 1, s[0:1]
	v_cmp_eq_u64_e64 s[0:1], v[2:3], v[6:7]
	v_or_b32_sdwa v23, v8, v22 dst_sel:DWORD dst_unused:UNUSED_PAD src0_sel:WORD_0 src1_sel:DWORD
	s_nop 0
	v_cndmask_b32_e64 v26, 0, 1, s[0:1]
	s_waitcnt vmcnt(0)
	v_cmp_eq_u64_e64 s[0:1], v[6:7], v[10:11]
	v_lshlrev_b16_e32 v8, 8, v26
	v_or_b32_e32 v8, v25, v8
	v_cndmask_b32_e64 v27, 0, 1, s[0:1]
	v_or_b32_sdwa v22, v27, s10 dst_sel:WORD_1 dst_unused:UNUSED_PAD src0_sel:DWORD src1_sel:DWORD
	s_nop 0
	v_or_b32_sdwa v22, v8, v22 dst_sel:DWORD dst_unused:UNUSED_PAD src0_sel:WORD_0 src1_sel:DWORD
	s_and_saveexec_b64 s[4:5], vcc
	s_cbranch_execz .LBB74_1
; %bb.3:                                ;   in Loop: Header=BB74_2 Depth=1
	ds_read_b64 v[24:25], v1 offset:8
	v_lshrrev_b32_sdwa v8, v15, v22 dst_sel:BYTE_1 dst_unused:UNUSED_PAD src0_sel:DWORD src1_sel:DWORD
	v_perm_b32 v23, v23, v23, s11
	v_or_b32_sdwa v8, v22, v8 dst_sel:DWORD dst_unused:UNUSED_PAD src0_sel:BYTE_0 src1_sel:DWORD
	v_and_b32_sdwa v22, v22, s8 dst_sel:DWORD dst_unused:UNUSED_PAD src0_sel:WORD_1 src1_sel:DWORD
	s_waitcnt lgkmcnt(0)
	v_cmp_eq_u64_e64 s[0:1], v[10:11], v[24:25]
	s_nop 1
	v_cndmask_b32_e64 v24, 0, 1, s[0:1]
	v_lshlrev_b16_e32 v24, 8, v24
	v_or_b32_sdwa v22, v22, v24 dst_sel:WORD_1 dst_unused:UNUSED_PAD src0_sel:DWORD src1_sel:DWORD
	s_nop 0
	v_or_b32_sdwa v22, v8, v22 dst_sel:DWORD dst_unused:UNUSED_PAD src0_sel:WORD_0 src1_sel:DWORD
	s_branch .LBB74_1
.LBB74_4:
	s_add_u32 s0, s6, s2
	s_addc_u32 s1, s7, s3
	v_lshlrev_b32_e32 v0, 3, v0
	v_mov_b32_e32 v1, 0
	v_lshl_add_u64 v[8:9], s[0:1], 0, v[0:1]
	global_store_dwordx2 v0, v[20:21], s[0:1]
	global_store_dwordx2 v0, v[16:17], s[0:1] offset:2048
	v_add_co_u32_e32 v0, vcc, 0x1000, v8
	s_nop 1
	v_addc_co_u32_e32 v1, vcc, 0, v9, vcc
	global_store_dwordx2 v[0:1], v[12:13], off
	global_store_dwordx2 v[0:1], v[18:19], off offset:2048
	v_add_co_u32_e32 v0, vcc, 0x2000, v8
	s_nop 1
	v_addc_co_u32_e32 v1, vcc, 0, v9, vcc
	global_store_dwordx2 v[0:1], v[4:5], off
	global_store_dwordx2 v[0:1], v[2:3], off offset:2048
	;; [unrolled: 5-line block ×3, first 2 shown]
	s_endpgm
	.section	.rodata,"a",@progbits
	.p2align	6, 0x0
	.amdhsa_kernel _Z6kernelI10flag_tailsxLj256ELj8ELb0ELj100EEvPKT0_PS1_
		.amdhsa_group_segment_fixed_size 4096
		.amdhsa_private_segment_fixed_size 0
		.amdhsa_kernarg_size 16
		.amdhsa_user_sgpr_count 2
		.amdhsa_user_sgpr_dispatch_ptr 0
		.amdhsa_user_sgpr_queue_ptr 0
		.amdhsa_user_sgpr_kernarg_segment_ptr 1
		.amdhsa_user_sgpr_dispatch_id 0
		.amdhsa_user_sgpr_kernarg_preload_length 0
		.amdhsa_user_sgpr_kernarg_preload_offset 0
		.amdhsa_user_sgpr_private_segment_size 0
		.amdhsa_uses_dynamic_stack 0
		.amdhsa_enable_private_segment 0
		.amdhsa_system_sgpr_workgroup_id_x 1
		.amdhsa_system_sgpr_workgroup_id_y 0
		.amdhsa_system_sgpr_workgroup_id_z 0
		.amdhsa_system_sgpr_workgroup_info 0
		.amdhsa_system_vgpr_workitem_id 0
		.amdhsa_next_free_vgpr 28
		.amdhsa_next_free_sgpr 12
		.amdhsa_accum_offset 28
		.amdhsa_reserve_vcc 1
		.amdhsa_float_round_mode_32 0
		.amdhsa_float_round_mode_16_64 0
		.amdhsa_float_denorm_mode_32 3
		.amdhsa_float_denorm_mode_16_64 3
		.amdhsa_dx10_clamp 1
		.amdhsa_ieee_mode 1
		.amdhsa_fp16_overflow 0
		.amdhsa_tg_split 0
		.amdhsa_exception_fp_ieee_invalid_op 0
		.amdhsa_exception_fp_denorm_src 0
		.amdhsa_exception_fp_ieee_div_zero 0
		.amdhsa_exception_fp_ieee_overflow 0
		.amdhsa_exception_fp_ieee_underflow 0
		.amdhsa_exception_fp_ieee_inexact 0
		.amdhsa_exception_int_div_zero 0
	.end_amdhsa_kernel
	.section	.text._Z6kernelI10flag_tailsxLj256ELj8ELb0ELj100EEvPKT0_PS1_,"axG",@progbits,_Z6kernelI10flag_tailsxLj256ELj8ELb0ELj100EEvPKT0_PS1_,comdat
.Lfunc_end74:
	.size	_Z6kernelI10flag_tailsxLj256ELj8ELb0ELj100EEvPKT0_PS1_, .Lfunc_end74-_Z6kernelI10flag_tailsxLj256ELj8ELb0ELj100EEvPKT0_PS1_
                                        ; -- End function
	.section	.AMDGPU.csdata,"",@progbits
; Kernel info:
; codeLenInByte = 784
; NumSgprs: 18
; NumVgprs: 28
; NumAgprs: 0
; TotalNumVgprs: 28
; ScratchSize: 0
; MemoryBound: 0
; FloatMode: 240
; IeeeMode: 1
; LDSByteSize: 4096 bytes/workgroup (compile time only)
; SGPRBlocks: 2
; VGPRBlocks: 3
; NumSGPRsForWavesPerEU: 18
; NumVGPRsForWavesPerEU: 28
; AccumOffset: 28
; Occupancy: 8
; WaveLimiterHint : 1
; COMPUTE_PGM_RSRC2:SCRATCH_EN: 0
; COMPUTE_PGM_RSRC2:USER_SGPR: 2
; COMPUTE_PGM_RSRC2:TRAP_HANDLER: 0
; COMPUTE_PGM_RSRC2:TGID_X_EN: 1
; COMPUTE_PGM_RSRC2:TGID_Y_EN: 0
; COMPUTE_PGM_RSRC2:TGID_Z_EN: 0
; COMPUTE_PGM_RSRC2:TIDIG_COMP_CNT: 0
; COMPUTE_PGM_RSRC3_GFX90A:ACCUM_OFFSET: 6
; COMPUTE_PGM_RSRC3_GFX90A:TG_SPLIT: 0
	.section	.text._Z6kernelI10flag_tailsxLj256ELj1ELb1ELj100EEvPKT0_PS1_,"axG",@progbits,_Z6kernelI10flag_tailsxLj256ELj1ELb1ELj100EEvPKT0_PS1_,comdat
	.protected	_Z6kernelI10flag_tailsxLj256ELj1ELb1ELj100EEvPKT0_PS1_ ; -- Begin function _Z6kernelI10flag_tailsxLj256ELj1ELb1ELj100EEvPKT0_PS1_
	.globl	_Z6kernelI10flag_tailsxLj256ELj1ELb1ELj100EEvPKT0_PS1_
	.p2align	8
	.type	_Z6kernelI10flag_tailsxLj256ELj1ELb1ELj100EEvPKT0_PS1_,@function
_Z6kernelI10flag_tailsxLj256ELj1ELb1ELj100EEvPKT0_PS1_: ; @_Z6kernelI10flag_tailsxLj256ELj1ELb1ELj100EEvPKT0_PS1_
; %bb.0:
	s_load_dwordx4 s[4:7], s[0:1], 0x0
	s_lshl_b32 s2, s2, 8
	s_mov_b32 s3, 0
	s_lshl_b64 s[8:9], s[2:3], 3
	v_lshlrev_b32_e32 v1, 3, v0
	s_waitcnt lgkmcnt(0)
	s_add_u32 s0, s4, s8
	s_addc_u32 s1, s5, s9
	global_load_dwordx2 v[2:3], v1, s[0:1]
	s_movk_i32 s0, 0xff
	v_cmp_ne_u32_e32 vcc, s0, v0
	v_or_b32_e32 v6, 0x800, v1
	s_movk_i32 s2, 0x64
	s_branch .LBB75_2
.LBB75_1:                               ;   in Loop: Header=BB75_2 Depth=1
	s_or_b64 exec, exec, s[0:1]
	s_waitcnt lgkmcnt(0)
	v_cmp_eq_u64_e64 s[0:1], v[2:3], v[4:5]
	v_mov_b32_e32 v5, s3
	s_add_i32 s2, s2, -1
	v_cndmask_b32_e64 v4, 0, 1, s[0:1]
	v_lshl_add_u64 v[2:3], v[2:3], 0, v[4:5]
	s_cmp_lg_u32 s2, 0
	s_barrier
	s_cbranch_scc0 .LBB75_4
.LBB75_2:                               ; =>This Inner Loop Header: Depth=1
	v_mov_b64_e32 v[4:5], 0x7b
	s_waitcnt vmcnt(0)
	ds_write_b64 v1, v[2:3] offset:2048
	s_waitcnt lgkmcnt(0)
	s_barrier
	s_and_saveexec_b64 s[0:1], vcc
	s_cbranch_execz .LBB75_1
; %bb.3:                                ;   in Loop: Header=BB75_2 Depth=1
	ds_read_b64 v[4:5], v6 offset:8
	s_branch .LBB75_1
.LBB75_4:
	s_add_u32 s0, s6, s8
	s_addc_u32 s1, s7, s9
	v_lshlrev_b32_e32 v0, 3, v0
	global_store_dwordx2 v0, v[2:3], s[0:1]
	s_endpgm
	.section	.rodata,"a",@progbits
	.p2align	6, 0x0
	.amdhsa_kernel _Z6kernelI10flag_tailsxLj256ELj1ELb1ELj100EEvPKT0_PS1_
		.amdhsa_group_segment_fixed_size 4096
		.amdhsa_private_segment_fixed_size 0
		.amdhsa_kernarg_size 16
		.amdhsa_user_sgpr_count 2
		.amdhsa_user_sgpr_dispatch_ptr 0
		.amdhsa_user_sgpr_queue_ptr 0
		.amdhsa_user_sgpr_kernarg_segment_ptr 1
		.amdhsa_user_sgpr_dispatch_id 0
		.amdhsa_user_sgpr_kernarg_preload_length 0
		.amdhsa_user_sgpr_kernarg_preload_offset 0
		.amdhsa_user_sgpr_private_segment_size 0
		.amdhsa_uses_dynamic_stack 0
		.amdhsa_enable_private_segment 0
		.amdhsa_system_sgpr_workgroup_id_x 1
		.amdhsa_system_sgpr_workgroup_id_y 0
		.amdhsa_system_sgpr_workgroup_id_z 0
		.amdhsa_system_sgpr_workgroup_info 0
		.amdhsa_system_vgpr_workitem_id 0
		.amdhsa_next_free_vgpr 7
		.amdhsa_next_free_sgpr 10
		.amdhsa_accum_offset 8
		.amdhsa_reserve_vcc 1
		.amdhsa_float_round_mode_32 0
		.amdhsa_float_round_mode_16_64 0
		.amdhsa_float_denorm_mode_32 3
		.amdhsa_float_denorm_mode_16_64 3
		.amdhsa_dx10_clamp 1
		.amdhsa_ieee_mode 1
		.amdhsa_fp16_overflow 0
		.amdhsa_tg_split 0
		.amdhsa_exception_fp_ieee_invalid_op 0
		.amdhsa_exception_fp_denorm_src 0
		.amdhsa_exception_fp_ieee_div_zero 0
		.amdhsa_exception_fp_ieee_overflow 0
		.amdhsa_exception_fp_ieee_underflow 0
		.amdhsa_exception_fp_ieee_inexact 0
		.amdhsa_exception_int_div_zero 0
	.end_amdhsa_kernel
	.section	.text._Z6kernelI10flag_tailsxLj256ELj1ELb1ELj100EEvPKT0_PS1_,"axG",@progbits,_Z6kernelI10flag_tailsxLj256ELj1ELb1ELj100EEvPKT0_PS1_,comdat
.Lfunc_end75:
	.size	_Z6kernelI10flag_tailsxLj256ELj1ELb1ELj100EEvPKT0_PS1_, .Lfunc_end75-_Z6kernelI10flag_tailsxLj256ELj1ELb1ELj100EEvPKT0_PS1_
                                        ; -- End function
	.section	.AMDGPU.csdata,"",@progbits
; Kernel info:
; codeLenInByte = 192
; NumSgprs: 16
; NumVgprs: 7
; NumAgprs: 0
; TotalNumVgprs: 7
; ScratchSize: 0
; MemoryBound: 0
; FloatMode: 240
; IeeeMode: 1
; LDSByteSize: 4096 bytes/workgroup (compile time only)
; SGPRBlocks: 1
; VGPRBlocks: 0
; NumSGPRsForWavesPerEU: 16
; NumVGPRsForWavesPerEU: 7
; AccumOffset: 8
; Occupancy: 8
; WaveLimiterHint : 0
; COMPUTE_PGM_RSRC2:SCRATCH_EN: 0
; COMPUTE_PGM_RSRC2:USER_SGPR: 2
; COMPUTE_PGM_RSRC2:TRAP_HANDLER: 0
; COMPUTE_PGM_RSRC2:TGID_X_EN: 1
; COMPUTE_PGM_RSRC2:TGID_Y_EN: 0
; COMPUTE_PGM_RSRC2:TGID_Z_EN: 0
; COMPUTE_PGM_RSRC2:TIDIG_COMP_CNT: 0
; COMPUTE_PGM_RSRC3_GFX90A:ACCUM_OFFSET: 1
; COMPUTE_PGM_RSRC3_GFX90A:TG_SPLIT: 0
	.section	.text._Z6kernelI10flag_tailsxLj256ELj2ELb1ELj100EEvPKT0_PS1_,"axG",@progbits,_Z6kernelI10flag_tailsxLj256ELj2ELb1ELj100EEvPKT0_PS1_,comdat
	.protected	_Z6kernelI10flag_tailsxLj256ELj2ELb1ELj100EEvPKT0_PS1_ ; -- Begin function _Z6kernelI10flag_tailsxLj256ELj2ELb1ELj100EEvPKT0_PS1_
	.globl	_Z6kernelI10flag_tailsxLj256ELj2ELb1ELj100EEvPKT0_PS1_
	.p2align	8
	.type	_Z6kernelI10flag_tailsxLj256ELj2ELb1ELj100EEvPKT0_PS1_,@function
_Z6kernelI10flag_tailsxLj256ELj2ELb1ELj100EEvPKT0_PS1_: ; @_Z6kernelI10flag_tailsxLj256ELj2ELb1ELj100EEvPKT0_PS1_
; %bb.0:
	s_load_dwordx4 s[4:7], s[0:1], 0x0
	s_lshl_b32 s2, s2, 9
	s_mov_b32 s3, 0
	s_lshl_b64 s[8:9], s[2:3], 3
	v_lshlrev_b32_e32 v1, 3, v0
	s_waitcnt lgkmcnt(0)
	s_add_u32 s0, s4, s8
	s_addc_u32 s1, s5, s9
	global_load_dwordx2 v[2:3], v1, s[0:1]
	global_load_dwordx2 v[4:5], v1, s[0:1] offset:2048
	s_movk_i32 s0, 0xff
	v_cmp_ne_u32_e32 vcc, s0, v0
	v_or_b32_e32 v8, 0x800, v1
	s_movk_i32 s2, 0x64
	s_branch .LBB76_2
.LBB76_1:                               ;   in Loop: Header=BB76_2 Depth=1
	s_or_b64 exec, exec, s[0:1]
	s_waitcnt vmcnt(0)
	v_cmp_eq_u64_e64 s[0:1], v[2:3], v[4:5]
	v_mov_b32_e32 v11, s3
	s_add_i32 s2, s2, -1
	v_cndmask_b32_e64 v10, 0, 1, s[0:1]
	s_waitcnt lgkmcnt(0)
	v_cmp_eq_u64_e64 s[0:1], v[4:5], v[6:7]
	v_mov_b32_e32 v7, s3
	v_lshl_add_u64 v[2:3], v[2:3], 0, v[10:11]
	v_cndmask_b32_e64 v6, 0, 1, s[0:1]
	v_lshl_add_u64 v[4:5], v[4:5], 0, v[6:7]
	s_cmp_lg_u32 s2, 0
	s_barrier
	s_cbranch_scc0 .LBB76_4
.LBB76_2:                               ; =>This Inner Loop Header: Depth=1
	v_mov_b64_e32 v[6:7], 0x7b
	s_waitcnt vmcnt(1)
	ds_write_b64 v1, v[2:3] offset:2048
	s_waitcnt lgkmcnt(0)
	s_barrier
	s_and_saveexec_b64 s[0:1], vcc
	s_cbranch_execz .LBB76_1
; %bb.3:                                ;   in Loop: Header=BB76_2 Depth=1
	ds_read_b64 v[6:7], v8 offset:8
	s_branch .LBB76_1
.LBB76_4:
	s_add_u32 s0, s6, s8
	s_addc_u32 s1, s7, s9
	v_lshlrev_b32_e32 v0, 3, v0
	global_store_dwordx2 v0, v[2:3], s[0:1]
	global_store_dwordx2 v0, v[4:5], s[0:1] offset:2048
	s_endpgm
	.section	.rodata,"a",@progbits
	.p2align	6, 0x0
	.amdhsa_kernel _Z6kernelI10flag_tailsxLj256ELj2ELb1ELj100EEvPKT0_PS1_
		.amdhsa_group_segment_fixed_size 4096
		.amdhsa_private_segment_fixed_size 0
		.amdhsa_kernarg_size 16
		.amdhsa_user_sgpr_count 2
		.amdhsa_user_sgpr_dispatch_ptr 0
		.amdhsa_user_sgpr_queue_ptr 0
		.amdhsa_user_sgpr_kernarg_segment_ptr 1
		.amdhsa_user_sgpr_dispatch_id 0
		.amdhsa_user_sgpr_kernarg_preload_length 0
		.amdhsa_user_sgpr_kernarg_preload_offset 0
		.amdhsa_user_sgpr_private_segment_size 0
		.amdhsa_uses_dynamic_stack 0
		.amdhsa_enable_private_segment 0
		.amdhsa_system_sgpr_workgroup_id_x 1
		.amdhsa_system_sgpr_workgroup_id_y 0
		.amdhsa_system_sgpr_workgroup_id_z 0
		.amdhsa_system_sgpr_workgroup_info 0
		.amdhsa_system_vgpr_workitem_id 0
		.amdhsa_next_free_vgpr 12
		.amdhsa_next_free_sgpr 10
		.amdhsa_accum_offset 12
		.amdhsa_reserve_vcc 1
		.amdhsa_float_round_mode_32 0
		.amdhsa_float_round_mode_16_64 0
		.amdhsa_float_denorm_mode_32 3
		.amdhsa_float_denorm_mode_16_64 3
		.amdhsa_dx10_clamp 1
		.amdhsa_ieee_mode 1
		.amdhsa_fp16_overflow 0
		.amdhsa_tg_split 0
		.amdhsa_exception_fp_ieee_invalid_op 0
		.amdhsa_exception_fp_denorm_src 0
		.amdhsa_exception_fp_ieee_div_zero 0
		.amdhsa_exception_fp_ieee_overflow 0
		.amdhsa_exception_fp_ieee_underflow 0
		.amdhsa_exception_fp_ieee_inexact 0
		.amdhsa_exception_int_div_zero 0
	.end_amdhsa_kernel
	.section	.text._Z6kernelI10flag_tailsxLj256ELj2ELb1ELj100EEvPKT0_PS1_,"axG",@progbits,_Z6kernelI10flag_tailsxLj256ELj2ELb1ELj100EEvPKT0_PS1_,comdat
.Lfunc_end76:
	.size	_Z6kernelI10flag_tailsxLj256ELj2ELb1ELj100EEvPKT0_PS1_, .Lfunc_end76-_Z6kernelI10flag_tailsxLj256ELj2ELb1ELj100EEvPKT0_PS1_
                                        ; -- End function
	.section	.AMDGPU.csdata,"",@progbits
; Kernel info:
; codeLenInByte = 240
; NumSgprs: 16
; NumVgprs: 12
; NumAgprs: 0
; TotalNumVgprs: 12
; ScratchSize: 0
; MemoryBound: 0
; FloatMode: 240
; IeeeMode: 1
; LDSByteSize: 4096 bytes/workgroup (compile time only)
; SGPRBlocks: 1
; VGPRBlocks: 1
; NumSGPRsForWavesPerEU: 16
; NumVGPRsForWavesPerEU: 12
; AccumOffset: 12
; Occupancy: 8
; WaveLimiterHint : 1
; COMPUTE_PGM_RSRC2:SCRATCH_EN: 0
; COMPUTE_PGM_RSRC2:USER_SGPR: 2
; COMPUTE_PGM_RSRC2:TRAP_HANDLER: 0
; COMPUTE_PGM_RSRC2:TGID_X_EN: 1
; COMPUTE_PGM_RSRC2:TGID_Y_EN: 0
; COMPUTE_PGM_RSRC2:TGID_Z_EN: 0
; COMPUTE_PGM_RSRC2:TIDIG_COMP_CNT: 0
; COMPUTE_PGM_RSRC3_GFX90A:ACCUM_OFFSET: 2
; COMPUTE_PGM_RSRC3_GFX90A:TG_SPLIT: 0
	.section	.text._Z6kernelI10flag_tailsxLj256ELj3ELb1ELj100EEvPKT0_PS1_,"axG",@progbits,_Z6kernelI10flag_tailsxLj256ELj3ELb1ELj100EEvPKT0_PS1_,comdat
	.protected	_Z6kernelI10flag_tailsxLj256ELj3ELb1ELj100EEvPKT0_PS1_ ; -- Begin function _Z6kernelI10flag_tailsxLj256ELj3ELb1ELj100EEvPKT0_PS1_
	.globl	_Z6kernelI10flag_tailsxLj256ELj3ELb1ELj100EEvPKT0_PS1_
	.p2align	8
	.type	_Z6kernelI10flag_tailsxLj256ELj3ELb1ELj100EEvPKT0_PS1_,@function
_Z6kernelI10flag_tailsxLj256ELj3ELb1ELj100EEvPKT0_PS1_: ; @_Z6kernelI10flag_tailsxLj256ELj3ELb1ELj100EEvPKT0_PS1_
; %bb.0:
	s_load_dwordx4 s[4:7], s[0:1], 0x0
	s_mulk_i32 s2, 0x300
	s_mov_b32 s3, 0
	s_lshl_b64 s[8:9], s[2:3], 3
	v_mov_b32_e32 v7, 0
	s_waitcnt lgkmcnt(0)
	s_add_u32 s0, s4, s8
	s_addc_u32 s1, s5, s9
	v_lshlrev_b32_e32 v6, 3, v0
	v_lshl_add_u64 v[4:5], s[0:1], 0, v[6:7]
	v_add_co_u32_e32 v10, vcc, 0x1000, v4
	global_load_dwordx2 v[2:3], v6, s[0:1] offset:2048
	s_nop 0
	v_addc_co_u32_e32 v11, vcc, 0, v5, vcc
	global_load_dwordx2 v[8:9], v6, s[0:1]
	global_load_dwordx2 v[4:5], v[10:11], off
	s_movk_i32 s0, 0xff
	v_cmp_ne_u32_e32 vcc, s0, v0
	v_or_b32_e32 v1, 0x800, v6
	s_movk_i32 s2, 0x64
	s_branch .LBB77_2
.LBB77_1:                               ;   in Loop: Header=BB77_2 Depth=1
	s_or_b64 exec, exec, s[0:1]
	v_cmp_eq_u64_e64 s[0:1], v[8:9], v[2:3]
	v_mov_b32_e32 v13, s3
	s_add_i32 s2, s2, -1
	v_cndmask_b32_e64 v12, 0, 1, s[0:1]
	s_waitcnt vmcnt(0)
	v_cmp_eq_u64_e64 s[0:1], v[2:3], v[4:5]
	v_lshl_add_u64 v[8:9], v[8:9], 0, v[12:13]
	s_cmp_lg_u32 s2, 0
	v_cndmask_b32_e64 v12, 0, 1, s[0:1]
	s_waitcnt lgkmcnt(0)
	v_cmp_eq_u64_e64 s[0:1], v[4:5], v[10:11]
	v_mov_b32_e32 v11, s3
	v_lshl_add_u64 v[2:3], v[2:3], 0, v[12:13]
	v_cndmask_b32_e64 v10, 0, 1, s[0:1]
	v_lshl_add_u64 v[4:5], v[4:5], 0, v[10:11]
	s_barrier
	s_cbranch_scc0 .LBB77_4
.LBB77_2:                               ; =>This Inner Loop Header: Depth=1
	v_mov_b64_e32 v[10:11], 0x7b
	s_waitcnt vmcnt(1)
	ds_write_b64 v6, v[8:9] offset:2048
	s_waitcnt lgkmcnt(0)
	s_barrier
	s_and_saveexec_b64 s[0:1], vcc
	s_cbranch_execz .LBB77_1
; %bb.3:                                ;   in Loop: Header=BB77_2 Depth=1
	ds_read_b64 v[10:11], v1 offset:8
	s_branch .LBB77_1
.LBB77_4:
	s_add_u32 s0, s6, s8
	s_addc_u32 s1, s7, s9
	v_lshlrev_b32_e32 v0, 3, v0
	v_mov_b32_e32 v1, 0
	v_lshl_add_u64 v[6:7], s[0:1], 0, v[0:1]
	global_store_dwordx2 v0, v[8:9], s[0:1]
	global_store_dwordx2 v0, v[2:3], s[0:1] offset:2048
	v_add_co_u32_e32 v0, vcc, 0x1000, v6
	s_nop 1
	v_addc_co_u32_e32 v1, vcc, 0, v7, vcc
	global_store_dwordx2 v[0:1], v[4:5], off
	s_endpgm
	.section	.rodata,"a",@progbits
	.p2align	6, 0x0
	.amdhsa_kernel _Z6kernelI10flag_tailsxLj256ELj3ELb1ELj100EEvPKT0_PS1_
		.amdhsa_group_segment_fixed_size 4096
		.amdhsa_private_segment_fixed_size 0
		.amdhsa_kernarg_size 16
		.amdhsa_user_sgpr_count 2
		.amdhsa_user_sgpr_dispatch_ptr 0
		.amdhsa_user_sgpr_queue_ptr 0
		.amdhsa_user_sgpr_kernarg_segment_ptr 1
		.amdhsa_user_sgpr_dispatch_id 0
		.amdhsa_user_sgpr_kernarg_preload_length 0
		.amdhsa_user_sgpr_kernarg_preload_offset 0
		.amdhsa_user_sgpr_private_segment_size 0
		.amdhsa_uses_dynamic_stack 0
		.amdhsa_enable_private_segment 0
		.amdhsa_system_sgpr_workgroup_id_x 1
		.amdhsa_system_sgpr_workgroup_id_y 0
		.amdhsa_system_sgpr_workgroup_id_z 0
		.amdhsa_system_sgpr_workgroup_info 0
		.amdhsa_system_vgpr_workitem_id 0
		.amdhsa_next_free_vgpr 14
		.amdhsa_next_free_sgpr 10
		.amdhsa_accum_offset 16
		.amdhsa_reserve_vcc 1
		.amdhsa_float_round_mode_32 0
		.amdhsa_float_round_mode_16_64 0
		.amdhsa_float_denorm_mode_32 3
		.amdhsa_float_denorm_mode_16_64 3
		.amdhsa_dx10_clamp 1
		.amdhsa_ieee_mode 1
		.amdhsa_fp16_overflow 0
		.amdhsa_tg_split 0
		.amdhsa_exception_fp_ieee_invalid_op 0
		.amdhsa_exception_fp_denorm_src 0
		.amdhsa_exception_fp_ieee_div_zero 0
		.amdhsa_exception_fp_ieee_overflow 0
		.amdhsa_exception_fp_ieee_underflow 0
		.amdhsa_exception_fp_ieee_inexact 0
		.amdhsa_exception_int_div_zero 0
	.end_amdhsa_kernel
	.section	.text._Z6kernelI10flag_tailsxLj256ELj3ELb1ELj100EEvPKT0_PS1_,"axG",@progbits,_Z6kernelI10flag_tailsxLj256ELj3ELb1ELj100EEvPKT0_PS1_,comdat
.Lfunc_end77:
	.size	_Z6kernelI10flag_tailsxLj256ELj3ELb1ELj100EEvPKT0_PS1_, .Lfunc_end77-_Z6kernelI10flag_tailsxLj256ELj3ELb1ELj100EEvPKT0_PS1_
                                        ; -- End function
	.section	.AMDGPU.csdata,"",@progbits
; Kernel info:
; codeLenInByte = 336
; NumSgprs: 16
; NumVgprs: 14
; NumAgprs: 0
; TotalNumVgprs: 14
; ScratchSize: 0
; MemoryBound: 0
; FloatMode: 240
; IeeeMode: 1
; LDSByteSize: 4096 bytes/workgroup (compile time only)
; SGPRBlocks: 1
; VGPRBlocks: 1
; NumSGPRsForWavesPerEU: 16
; NumVGPRsForWavesPerEU: 14
; AccumOffset: 16
; Occupancy: 8
; WaveLimiterHint : 1
; COMPUTE_PGM_RSRC2:SCRATCH_EN: 0
; COMPUTE_PGM_RSRC2:USER_SGPR: 2
; COMPUTE_PGM_RSRC2:TRAP_HANDLER: 0
; COMPUTE_PGM_RSRC2:TGID_X_EN: 1
; COMPUTE_PGM_RSRC2:TGID_Y_EN: 0
; COMPUTE_PGM_RSRC2:TGID_Z_EN: 0
; COMPUTE_PGM_RSRC2:TIDIG_COMP_CNT: 0
; COMPUTE_PGM_RSRC3_GFX90A:ACCUM_OFFSET: 3
; COMPUTE_PGM_RSRC3_GFX90A:TG_SPLIT: 0
	.section	.text._Z6kernelI10flag_tailsxLj256ELj4ELb1ELj100EEvPKT0_PS1_,"axG",@progbits,_Z6kernelI10flag_tailsxLj256ELj4ELb1ELj100EEvPKT0_PS1_,comdat
	.protected	_Z6kernelI10flag_tailsxLj256ELj4ELb1ELj100EEvPKT0_PS1_ ; -- Begin function _Z6kernelI10flag_tailsxLj256ELj4ELb1ELj100EEvPKT0_PS1_
	.globl	_Z6kernelI10flag_tailsxLj256ELj4ELb1ELj100EEvPKT0_PS1_
	.p2align	8
	.type	_Z6kernelI10flag_tailsxLj256ELj4ELb1ELj100EEvPKT0_PS1_,@function
_Z6kernelI10flag_tailsxLj256ELj4ELb1ELj100EEvPKT0_PS1_: ; @_Z6kernelI10flag_tailsxLj256ELj4ELb1ELj100EEvPKT0_PS1_
; %bb.0:
	s_load_dwordx4 s[4:7], s[0:1], 0x0
	s_lshl_b32 s2, s2, 10
	s_mov_b32 s3, 0
	s_lshl_b64 s[8:9], s[2:3], 3
	v_mov_b32_e32 v9, 0
	s_waitcnt lgkmcnt(0)
	s_add_u32 s0, s4, s8
	s_addc_u32 s1, s5, s9
	v_lshlrev_b32_e32 v8, 3, v0
	v_lshl_add_u64 v[4:5], s[0:1], 0, v[8:9]
	v_add_co_u32_e32 v12, vcc, 0x1000, v4
	global_load_dwordx2 v[2:3], v8, s[0:1] offset:2048
	s_nop 0
	v_addc_co_u32_e32 v13, vcc, 0, v5, vcc
	global_load_dwordx2 v[4:5], v[12:13], off
	global_load_dwordx2 v[10:11], v8, s[0:1]
	global_load_dwordx2 v[6:7], v[12:13], off offset:2048
	s_movk_i32 s0, 0xff
	v_cmp_ne_u32_e32 vcc, s0, v0
	v_or_b32_e32 v1, 0x800, v8
	s_movk_i32 s2, 0x64
	s_branch .LBB78_2
.LBB78_1:                               ;   in Loop: Header=BB78_2 Depth=1
	s_or_b64 exec, exec, s[0:1]
	v_cmp_eq_u64_e64 s[0:1], v[10:11], v[2:3]
	v_mov_b32_e32 v15, s3
	s_add_i32 s2, s2, -1
	v_cndmask_b32_e64 v14, 0, 1, s[0:1]
	v_cmp_eq_u64_e64 s[0:1], v[2:3], v[4:5]
	v_lshl_add_u64 v[10:11], v[10:11], 0, v[14:15]
	s_cmp_lg_u32 s2, 0
	v_cndmask_b32_e64 v14, 0, 1, s[0:1]
	s_waitcnt vmcnt(0)
	v_cmp_eq_u64_e64 s[0:1], v[4:5], v[6:7]
	v_lshl_add_u64 v[2:3], v[2:3], 0, v[14:15]
	s_waitcnt lgkmcnt(0)
	v_cndmask_b32_e64 v14, 0, 1, s[0:1]
	v_cmp_eq_u64_e64 s[0:1], v[6:7], v[12:13]
	v_mov_b32_e32 v13, s3
	v_lshl_add_u64 v[4:5], v[4:5], 0, v[14:15]
	v_cndmask_b32_e64 v12, 0, 1, s[0:1]
	v_lshl_add_u64 v[6:7], v[6:7], 0, v[12:13]
	s_barrier
	s_cbranch_scc0 .LBB78_4
.LBB78_2:                               ; =>This Inner Loop Header: Depth=1
	v_mov_b64_e32 v[12:13], 0x7b
	s_waitcnt vmcnt(1)
	ds_write_b64 v8, v[10:11] offset:2048
	s_waitcnt lgkmcnt(0)
	s_barrier
	s_and_saveexec_b64 s[0:1], vcc
	s_cbranch_execz .LBB78_1
; %bb.3:                                ;   in Loop: Header=BB78_2 Depth=1
	ds_read_b64 v[12:13], v1 offset:8
	s_branch .LBB78_1
.LBB78_4:
	s_add_u32 s0, s6, s8
	s_addc_u32 s1, s7, s9
	v_lshlrev_b32_e32 v0, 3, v0
	v_mov_b32_e32 v1, 0
	v_lshl_add_u64 v[8:9], s[0:1], 0, v[0:1]
	global_store_dwordx2 v0, v[10:11], s[0:1]
	global_store_dwordx2 v0, v[2:3], s[0:1] offset:2048
	v_add_co_u32_e32 v0, vcc, 0x1000, v8
	s_nop 1
	v_addc_co_u32_e32 v1, vcc, 0, v9, vcc
	global_store_dwordx2 v[0:1], v[4:5], off
	global_store_dwordx2 v[0:1], v[6:7], off offset:2048
	s_endpgm
	.section	.rodata,"a",@progbits
	.p2align	6, 0x0
	.amdhsa_kernel _Z6kernelI10flag_tailsxLj256ELj4ELb1ELj100EEvPKT0_PS1_
		.amdhsa_group_segment_fixed_size 4096
		.amdhsa_private_segment_fixed_size 0
		.amdhsa_kernarg_size 16
		.amdhsa_user_sgpr_count 2
		.amdhsa_user_sgpr_dispatch_ptr 0
		.amdhsa_user_sgpr_queue_ptr 0
		.amdhsa_user_sgpr_kernarg_segment_ptr 1
		.amdhsa_user_sgpr_dispatch_id 0
		.amdhsa_user_sgpr_kernarg_preload_length 0
		.amdhsa_user_sgpr_kernarg_preload_offset 0
		.amdhsa_user_sgpr_private_segment_size 0
		.amdhsa_uses_dynamic_stack 0
		.amdhsa_enable_private_segment 0
		.amdhsa_system_sgpr_workgroup_id_x 1
		.amdhsa_system_sgpr_workgroup_id_y 0
		.amdhsa_system_sgpr_workgroup_id_z 0
		.amdhsa_system_sgpr_workgroup_info 0
		.amdhsa_system_vgpr_workitem_id 0
		.amdhsa_next_free_vgpr 16
		.amdhsa_next_free_sgpr 10
		.amdhsa_accum_offset 16
		.amdhsa_reserve_vcc 1
		.amdhsa_float_round_mode_32 0
		.amdhsa_float_round_mode_16_64 0
		.amdhsa_float_denorm_mode_32 3
		.amdhsa_float_denorm_mode_16_64 3
		.amdhsa_dx10_clamp 1
		.amdhsa_ieee_mode 1
		.amdhsa_fp16_overflow 0
		.amdhsa_tg_split 0
		.amdhsa_exception_fp_ieee_invalid_op 0
		.amdhsa_exception_fp_denorm_src 0
		.amdhsa_exception_fp_ieee_div_zero 0
		.amdhsa_exception_fp_ieee_overflow 0
		.amdhsa_exception_fp_ieee_underflow 0
		.amdhsa_exception_fp_ieee_inexact 0
		.amdhsa_exception_int_div_zero 0
	.end_amdhsa_kernel
	.section	.text._Z6kernelI10flag_tailsxLj256ELj4ELb1ELj100EEvPKT0_PS1_,"axG",@progbits,_Z6kernelI10flag_tailsxLj256ELj4ELb1ELj100EEvPKT0_PS1_,comdat
.Lfunc_end78:
	.size	_Z6kernelI10flag_tailsxLj256ELj4ELb1ELj100EEvPKT0_PS1_, .Lfunc_end78-_Z6kernelI10flag_tailsxLj256ELj4ELb1ELj100EEvPKT0_PS1_
                                        ; -- End function
	.section	.AMDGPU.csdata,"",@progbits
; Kernel info:
; codeLenInByte = 376
; NumSgprs: 16
; NumVgprs: 16
; NumAgprs: 0
; TotalNumVgprs: 16
; ScratchSize: 0
; MemoryBound: 0
; FloatMode: 240
; IeeeMode: 1
; LDSByteSize: 4096 bytes/workgroup (compile time only)
; SGPRBlocks: 1
; VGPRBlocks: 1
; NumSGPRsForWavesPerEU: 16
; NumVGPRsForWavesPerEU: 16
; AccumOffset: 16
; Occupancy: 8
; WaveLimiterHint : 1
; COMPUTE_PGM_RSRC2:SCRATCH_EN: 0
; COMPUTE_PGM_RSRC2:USER_SGPR: 2
; COMPUTE_PGM_RSRC2:TRAP_HANDLER: 0
; COMPUTE_PGM_RSRC2:TGID_X_EN: 1
; COMPUTE_PGM_RSRC2:TGID_Y_EN: 0
; COMPUTE_PGM_RSRC2:TGID_Z_EN: 0
; COMPUTE_PGM_RSRC2:TIDIG_COMP_CNT: 0
; COMPUTE_PGM_RSRC3_GFX90A:ACCUM_OFFSET: 3
; COMPUTE_PGM_RSRC3_GFX90A:TG_SPLIT: 0
	.section	.text._Z6kernelI10flag_tailsxLj256ELj8ELb1ELj100EEvPKT0_PS1_,"axG",@progbits,_Z6kernelI10flag_tailsxLj256ELj8ELb1ELj100EEvPKT0_PS1_,comdat
	.protected	_Z6kernelI10flag_tailsxLj256ELj8ELb1ELj100EEvPKT0_PS1_ ; -- Begin function _Z6kernelI10flag_tailsxLj256ELj8ELb1ELj100EEvPKT0_PS1_
	.globl	_Z6kernelI10flag_tailsxLj256ELj8ELb1ELj100EEvPKT0_PS1_
	.p2align	8
	.type	_Z6kernelI10flag_tailsxLj256ELj8ELb1ELj100EEvPKT0_PS1_,@function
_Z6kernelI10flag_tailsxLj256ELj8ELb1ELj100EEvPKT0_PS1_: ; @_Z6kernelI10flag_tailsxLj256ELj8ELb1ELj100EEvPKT0_PS1_
; %bb.0:
	s_load_dwordx4 s[4:7], s[0:1], 0x0
	s_lshl_b32 s2, s2, 11
	s_mov_b32 s3, 0
	s_lshl_b64 s[8:9], s[2:3], 3
	v_mov_b32_e32 v7, 0
	s_waitcnt lgkmcnt(0)
	s_add_u32 s0, s4, s8
	s_addc_u32 s1, s5, s9
	v_lshlrev_b32_e32 v6, 3, v0
	v_lshl_add_u64 v[8:9], s[0:1], 0, v[6:7]
	s_movk_i32 s2, 0x1000
	v_add_co_u32_e32 v20, vcc, s2, v8
	s_movk_i32 s2, 0x2000
	s_nop 0
	v_addc_co_u32_e32 v21, vcc, 0, v9, vcc
	v_add_co_u32_e32 v10, vcc, s2, v8
	v_or_b32_e32 v1, 0x800, v6
	s_nop 0
	v_addc_co_u32_e32 v11, vcc, 0, v9, vcc
	v_add_co_u32_e32 v22, vcc, 0x3000, v8
	global_load_dwordx2 v[14:15], v6, s[0:1] offset:2048
	global_load_dwordx2 v[12:13], v[10:11], off offset:-4096
	global_load_dwordx2 v[4:5], v[10:11], off
	global_load_dwordx2 v[2:3], v[10:11], off offset:2048
	v_addc_co_u32_e32 v23, vcc, 0, v9, vcc
	global_load_dwordx2 v[16:17], v[20:21], off offset:2048
	global_load_dwordx2 v[8:9], v[22:23], off
	global_load_dwordx2 v[18:19], v6, s[0:1]
	global_load_dwordx2 v[10:11], v[22:23], off offset:2048
	s_movk_i32 s0, 0xff
	v_cmp_ne_u32_e32 vcc, s0, v0
	s_movk_i32 s2, 0x64
	s_branch .LBB79_2
.LBB79_1:                               ;   in Loop: Header=BB79_2 Depth=1
	s_or_b64 exec, exec, s[0:1]
	v_cmp_eq_u64_e64 s[0:1], v[18:19], v[14:15]
	v_mov_b32_e32 v23, s3
	s_add_i32 s2, s2, -1
	v_cndmask_b32_e64 v22, 0, 1, s[0:1]
	v_cmp_eq_u64_e64 s[0:1], v[14:15], v[12:13]
	v_lshl_add_u64 v[18:19], v[18:19], 0, v[22:23]
	s_cmp_lg_u32 s2, 0
	v_cndmask_b32_e64 v22, 0, 1, s[0:1]
	v_cmp_eq_u64_e64 s[0:1], v[12:13], v[16:17]
	v_lshl_add_u64 v[14:15], v[14:15], 0, v[22:23]
	s_waitcnt lgkmcnt(0)
	v_cndmask_b32_e64 v22, 0, 1, s[0:1]
	v_cmp_eq_u64_e64 s[0:1], v[16:17], v[4:5]
	v_lshl_add_u64 v[12:13], v[12:13], 0, v[22:23]
	s_barrier
	v_cndmask_b32_e64 v22, 0, 1, s[0:1]
	v_cmp_eq_u64_e64 s[0:1], v[4:5], v[2:3]
	v_lshl_add_u64 v[16:17], v[16:17], 0, v[22:23]
	s_nop 0
	v_cndmask_b32_e64 v22, 0, 1, s[0:1]
	v_cmp_eq_u64_e64 s[0:1], v[2:3], v[8:9]
	v_lshl_add_u64 v[4:5], v[4:5], 0, v[22:23]
	s_nop 0
	v_cndmask_b32_e64 v22, 0, 1, s[0:1]
	s_waitcnt vmcnt(0)
	v_cmp_eq_u64_e64 s[0:1], v[8:9], v[10:11]
	v_lshl_add_u64 v[2:3], v[2:3], 0, v[22:23]
	s_nop 0
	v_cndmask_b32_e64 v22, 0, 1, s[0:1]
	v_cmp_eq_u64_e64 s[0:1], v[10:11], v[20:21]
	v_mov_b32_e32 v21, s3
	v_lshl_add_u64 v[8:9], v[8:9], 0, v[22:23]
	v_cndmask_b32_e64 v20, 0, 1, s[0:1]
	v_lshl_add_u64 v[10:11], v[10:11], 0, v[20:21]
	s_cbranch_scc0 .LBB79_4
.LBB79_2:                               ; =>This Inner Loop Header: Depth=1
	v_mov_b64_e32 v[20:21], 0x7b
	s_waitcnt vmcnt(1)
	ds_write_b64 v6, v[18:19] offset:2048
	s_waitcnt lgkmcnt(0)
	s_barrier
	s_and_saveexec_b64 s[0:1], vcc
	s_cbranch_execz .LBB79_1
; %bb.3:                                ;   in Loop: Header=BB79_2 Depth=1
	ds_read_b64 v[20:21], v1 offset:8
	s_branch .LBB79_1
.LBB79_4:
	s_add_u32 s0, s6, s8
	s_addc_u32 s1, s7, s9
	v_lshlrev_b32_e32 v0, 3, v0
	v_mov_b32_e32 v1, 0
	v_lshl_add_u64 v[6:7], s[0:1], 0, v[0:1]
	global_store_dwordx2 v0, v[18:19], s[0:1]
	global_store_dwordx2 v0, v[14:15], s[0:1] offset:2048
	v_add_co_u32_e32 v0, vcc, 0x1000, v6
	s_nop 1
	v_addc_co_u32_e32 v1, vcc, 0, v7, vcc
	global_store_dwordx2 v[0:1], v[12:13], off
	global_store_dwordx2 v[0:1], v[16:17], off offset:2048
	v_add_co_u32_e32 v0, vcc, 0x2000, v6
	s_nop 1
	v_addc_co_u32_e32 v1, vcc, 0, v7, vcc
	global_store_dwordx2 v[0:1], v[4:5], off
	global_store_dwordx2 v[0:1], v[2:3], off offset:2048
	;; [unrolled: 5-line block ×3, first 2 shown]
	s_endpgm
	.section	.rodata,"a",@progbits
	.p2align	6, 0x0
	.amdhsa_kernel _Z6kernelI10flag_tailsxLj256ELj8ELb1ELj100EEvPKT0_PS1_
		.amdhsa_group_segment_fixed_size 4096
		.amdhsa_private_segment_fixed_size 0
		.amdhsa_kernarg_size 16
		.amdhsa_user_sgpr_count 2
		.amdhsa_user_sgpr_dispatch_ptr 0
		.amdhsa_user_sgpr_queue_ptr 0
		.amdhsa_user_sgpr_kernarg_segment_ptr 1
		.amdhsa_user_sgpr_dispatch_id 0
		.amdhsa_user_sgpr_kernarg_preload_length 0
		.amdhsa_user_sgpr_kernarg_preload_offset 0
		.amdhsa_user_sgpr_private_segment_size 0
		.amdhsa_uses_dynamic_stack 0
		.amdhsa_enable_private_segment 0
		.amdhsa_system_sgpr_workgroup_id_x 1
		.amdhsa_system_sgpr_workgroup_id_y 0
		.amdhsa_system_sgpr_workgroup_id_z 0
		.amdhsa_system_sgpr_workgroup_info 0
		.amdhsa_system_vgpr_workitem_id 0
		.amdhsa_next_free_vgpr 24
		.amdhsa_next_free_sgpr 10
		.amdhsa_accum_offset 24
		.amdhsa_reserve_vcc 1
		.amdhsa_float_round_mode_32 0
		.amdhsa_float_round_mode_16_64 0
		.amdhsa_float_denorm_mode_32 3
		.amdhsa_float_denorm_mode_16_64 3
		.amdhsa_dx10_clamp 1
		.amdhsa_ieee_mode 1
		.amdhsa_fp16_overflow 0
		.amdhsa_tg_split 0
		.amdhsa_exception_fp_ieee_invalid_op 0
		.amdhsa_exception_fp_denorm_src 0
		.amdhsa_exception_fp_ieee_div_zero 0
		.amdhsa_exception_fp_ieee_overflow 0
		.amdhsa_exception_fp_ieee_underflow 0
		.amdhsa_exception_fp_ieee_inexact 0
		.amdhsa_exception_int_div_zero 0
	.end_amdhsa_kernel
	.section	.text._Z6kernelI10flag_tailsxLj256ELj8ELb1ELj100EEvPKT0_PS1_,"axG",@progbits,_Z6kernelI10flag_tailsxLj256ELj8ELb1ELj100EEvPKT0_PS1_,comdat
.Lfunc_end79:
	.size	_Z6kernelI10flag_tailsxLj256ELj8ELb1ELj100EEvPKT0_PS1_, .Lfunc_end79-_Z6kernelI10flag_tailsxLj256ELj8ELb1ELj100EEvPKT0_PS1_
                                        ; -- End function
	.section	.AMDGPU.csdata,"",@progbits
; Kernel info:
; codeLenInByte = 608
; NumSgprs: 16
; NumVgprs: 24
; NumAgprs: 0
; TotalNumVgprs: 24
; ScratchSize: 0
; MemoryBound: 0
; FloatMode: 240
; IeeeMode: 1
; LDSByteSize: 4096 bytes/workgroup (compile time only)
; SGPRBlocks: 1
; VGPRBlocks: 2
; NumSGPRsForWavesPerEU: 16
; NumVGPRsForWavesPerEU: 24
; AccumOffset: 24
; Occupancy: 8
; WaveLimiterHint : 1
; COMPUTE_PGM_RSRC2:SCRATCH_EN: 0
; COMPUTE_PGM_RSRC2:USER_SGPR: 2
; COMPUTE_PGM_RSRC2:TRAP_HANDLER: 0
; COMPUTE_PGM_RSRC2:TGID_X_EN: 1
; COMPUTE_PGM_RSRC2:TGID_Y_EN: 0
; COMPUTE_PGM_RSRC2:TGID_Z_EN: 0
; COMPUTE_PGM_RSRC2:TIDIG_COMP_CNT: 0
; COMPUTE_PGM_RSRC3_GFX90A:ACCUM_OFFSET: 5
; COMPUTE_PGM_RSRC3_GFX90A:TG_SPLIT: 0
	.section	.text._Z6kernelI20flag_heads_and_tailsiLj256ELj1ELb0ELj100EEvPKT0_PS1_,"axG",@progbits,_Z6kernelI20flag_heads_and_tailsiLj256ELj1ELb0ELj100EEvPKT0_PS1_,comdat
	.protected	_Z6kernelI20flag_heads_and_tailsiLj256ELj1ELb0ELj100EEvPKT0_PS1_ ; -- Begin function _Z6kernelI20flag_heads_and_tailsiLj256ELj1ELb0ELj100EEvPKT0_PS1_
	.globl	_Z6kernelI20flag_heads_and_tailsiLj256ELj1ELb0ELj100EEvPKT0_PS1_
	.p2align	8
	.type	_Z6kernelI20flag_heads_and_tailsiLj256ELj1ELb0ELj100EEvPKT0_PS1_,@function
_Z6kernelI20flag_heads_and_tailsiLj256ELj1ELb0ELj100EEvPKT0_PS1_: ; @_Z6kernelI20flag_heads_and_tailsiLj256ELj1ELb0ELj100EEvPKT0_PS1_
; %bb.0:
	s_load_dwordx4 s[4:7], s[0:1], 0x0
	s_lshl_b32 s0, s2, 8
	s_mov_b32 s1, 0
	s_lshl_b64 s[8:9], s[0:1], 2
	v_lshlrev_b32_e32 v2, 2, v0
	s_waitcnt lgkmcnt(0)
	s_add_u32 s0, s4, s8
	s_addc_u32 s1, s5, s9
	global_load_dword v1, v2, s[0:1]
	s_movk_i32 s0, 0xff
	v_cmp_ne_u32_e32 vcc, 0, v0
	v_cmp_ne_u32_e64 s[0:1], s0, v0
	v_add_u32_e32 v3, -4, v2
	v_or_b32_e32 v4, 0x400, v2
	s_movk_i32 s10, 0x64
	s_branch .LBB80_2
.LBB80_1:                               ;   in Loop: Header=BB80_2 Depth=1
	s_or_b64 exec, exec, s[4:5]
	s_add_i32 s10, s10, -1
	v_add3_u32 v1, v6, v1, v5
	s_cmp_lg_u32 s10, 0
	s_barrier
	s_cbranch_scc0 .LBB80_6
.LBB80_2:                               ; =>This Inner Loop Header: Depth=1
	v_mov_b32_e32 v5, 1
	v_mov_b32_e32 v6, 1
	s_waitcnt vmcnt(0)
	ds_write_b32 v2, v1
	s_waitcnt lgkmcnt(0)
	s_barrier
	s_and_saveexec_b64 s[4:5], vcc
	s_cbranch_execz .LBB80_4
; %bb.3:                                ;   in Loop: Header=BB80_2 Depth=1
	ds_read_b32 v6, v3
	s_waitcnt lgkmcnt(0)
	v_cmp_eq_u32_e64 s[2:3], v6, v1
	s_nop 1
	v_cndmask_b32_e64 v6, 0, 1, s[2:3]
.LBB80_4:                               ;   in Loop: Header=BB80_2 Depth=1
	s_or_b64 exec, exec, s[4:5]
	ds_write_b32 v2, v1 offset:1024
	s_waitcnt lgkmcnt(0)
	s_barrier
	s_and_saveexec_b64 s[4:5], s[0:1]
	s_cbranch_execz .LBB80_1
; %bb.5:                                ;   in Loop: Header=BB80_2 Depth=1
	ds_read_b32 v5, v4 offset:4
	s_waitcnt lgkmcnt(0)
	v_cmp_eq_u32_e64 s[2:3], v5, v1
	s_nop 1
	v_cndmask_b32_e64 v5, 0, 1, s[2:3]
	s_branch .LBB80_1
.LBB80_6:
	s_add_u32 s0, s6, s8
	s_addc_u32 s1, s7, s9
	v_lshlrev_b32_e32 v0, 2, v0
	global_store_dword v0, v1, s[0:1]
	s_endpgm
	.section	.rodata,"a",@progbits
	.p2align	6, 0x0
	.amdhsa_kernel _Z6kernelI20flag_heads_and_tailsiLj256ELj1ELb0ELj100EEvPKT0_PS1_
		.amdhsa_group_segment_fixed_size 2048
		.amdhsa_private_segment_fixed_size 0
		.amdhsa_kernarg_size 16
		.amdhsa_user_sgpr_count 2
		.amdhsa_user_sgpr_dispatch_ptr 0
		.amdhsa_user_sgpr_queue_ptr 0
		.amdhsa_user_sgpr_kernarg_segment_ptr 1
		.amdhsa_user_sgpr_dispatch_id 0
		.amdhsa_user_sgpr_kernarg_preload_length 0
		.amdhsa_user_sgpr_kernarg_preload_offset 0
		.amdhsa_user_sgpr_private_segment_size 0
		.amdhsa_uses_dynamic_stack 0
		.amdhsa_enable_private_segment 0
		.amdhsa_system_sgpr_workgroup_id_x 1
		.amdhsa_system_sgpr_workgroup_id_y 0
		.amdhsa_system_sgpr_workgroup_id_z 0
		.amdhsa_system_sgpr_workgroup_info 0
		.amdhsa_system_vgpr_workitem_id 0
		.amdhsa_next_free_vgpr 7
		.amdhsa_next_free_sgpr 11
		.amdhsa_accum_offset 8
		.amdhsa_reserve_vcc 1
		.amdhsa_float_round_mode_32 0
		.amdhsa_float_round_mode_16_64 0
		.amdhsa_float_denorm_mode_32 3
		.amdhsa_float_denorm_mode_16_64 3
		.amdhsa_dx10_clamp 1
		.amdhsa_ieee_mode 1
		.amdhsa_fp16_overflow 0
		.amdhsa_tg_split 0
		.amdhsa_exception_fp_ieee_invalid_op 0
		.amdhsa_exception_fp_denorm_src 0
		.amdhsa_exception_fp_ieee_div_zero 0
		.amdhsa_exception_fp_ieee_overflow 0
		.amdhsa_exception_fp_ieee_underflow 0
		.amdhsa_exception_fp_ieee_inexact 0
		.amdhsa_exception_int_div_zero 0
	.end_amdhsa_kernel
	.section	.text._Z6kernelI20flag_heads_and_tailsiLj256ELj1ELb0ELj100EEvPKT0_PS1_,"axG",@progbits,_Z6kernelI20flag_heads_and_tailsiLj256ELj1ELb0ELj100EEvPKT0_PS1_,comdat
.Lfunc_end80:
	.size	_Z6kernelI20flag_heads_and_tailsiLj256ELj1ELb0ELj100EEvPKT0_PS1_, .Lfunc_end80-_Z6kernelI20flag_heads_and_tailsiLj256ELj1ELb0ELj100EEvPKT0_PS1_
                                        ; -- End function
	.section	.AMDGPU.csdata,"",@progbits
; Kernel info:
; codeLenInByte = 264
; NumSgprs: 17
; NumVgprs: 7
; NumAgprs: 0
; TotalNumVgprs: 7
; ScratchSize: 0
; MemoryBound: 0
; FloatMode: 240
; IeeeMode: 1
; LDSByteSize: 2048 bytes/workgroup (compile time only)
; SGPRBlocks: 2
; VGPRBlocks: 0
; NumSGPRsForWavesPerEU: 17
; NumVGPRsForWavesPerEU: 7
; AccumOffset: 8
; Occupancy: 8
; WaveLimiterHint : 0
; COMPUTE_PGM_RSRC2:SCRATCH_EN: 0
; COMPUTE_PGM_RSRC2:USER_SGPR: 2
; COMPUTE_PGM_RSRC2:TRAP_HANDLER: 0
; COMPUTE_PGM_RSRC2:TGID_X_EN: 1
; COMPUTE_PGM_RSRC2:TGID_Y_EN: 0
; COMPUTE_PGM_RSRC2:TGID_Z_EN: 0
; COMPUTE_PGM_RSRC2:TIDIG_COMP_CNT: 0
; COMPUTE_PGM_RSRC3_GFX90A:ACCUM_OFFSET: 1
; COMPUTE_PGM_RSRC3_GFX90A:TG_SPLIT: 0
	.section	.text._Z6kernelI20flag_heads_and_tailsiLj256ELj2ELb0ELj100EEvPKT0_PS1_,"axG",@progbits,_Z6kernelI20flag_heads_and_tailsiLj256ELj2ELb0ELj100EEvPKT0_PS1_,comdat
	.protected	_Z6kernelI20flag_heads_and_tailsiLj256ELj2ELb0ELj100EEvPKT0_PS1_ ; -- Begin function _Z6kernelI20flag_heads_and_tailsiLj256ELj2ELb0ELj100EEvPKT0_PS1_
	.globl	_Z6kernelI20flag_heads_and_tailsiLj256ELj2ELb0ELj100EEvPKT0_PS1_
	.p2align	8
	.type	_Z6kernelI20flag_heads_and_tailsiLj256ELj2ELb0ELj100EEvPKT0_PS1_,@function
_Z6kernelI20flag_heads_and_tailsiLj256ELj2ELb0ELj100EEvPKT0_PS1_: ; @_Z6kernelI20flag_heads_and_tailsiLj256ELj2ELb0ELj100EEvPKT0_PS1_
; %bb.0:
	s_load_dwordx4 s[4:7], s[0:1], 0x0
	s_lshl_b32 s0, s2, 9
	s_mov_b32 s1, 0
	s_lshl_b64 s[8:9], s[0:1], 2
	v_lshlrev_b32_e32 v3, 2, v0
	s_waitcnt lgkmcnt(0)
	s_add_u32 s0, s4, s8
	s_addc_u32 s1, s5, s9
	global_load_dword v1, v3, s[0:1]
	global_load_dword v2, v3, s[0:1] offset:1024
	s_movk_i32 s0, 0xff
	v_cmp_ne_u32_e32 vcc, 0, v0
	v_cmp_ne_u32_e64 s[0:1], s0, v0
	v_add_u32_e32 v4, -4, v3
	v_or_b32_e32 v5, 0x400, v3
	s_movk_i32 s10, 0x64
	s_branch .LBB81_2
.LBB81_1:                               ;   in Loop: Header=BB81_2 Depth=1
	s_or_b64 exec, exec, s[4:5]
	v_and_b32_e32 v8, 0xff, v6
	v_and_b32_e32 v9, 0xff, v7
	v_lshrrev_b16_e32 v6, 8, v6
	v_lshrrev_b16_e32 v7, 8, v7
	s_add_i32 s10, s10, -1
	v_add3_u32 v1, v1, v8, v9
	v_add3_u32 v2, v2, v6, v7
	s_cmp_lg_u32 s10, 0
	s_barrier
	s_cbranch_scc0 .LBB81_6
.LBB81_2:                               ; =>This Inner Loop Header: Depth=1
	s_waitcnt vmcnt(0)
	v_cmp_eq_u32_e64 s[2:3], v1, v2
	ds_write_b32 v3, v2
	s_waitcnt lgkmcnt(0)
	v_cndmask_b32_e64 v7, 0, 1, s[2:3]
	v_lshlrev_b16_e32 v6, 8, v7
	v_or_b32_e32 v6, 1, v6
	v_and_b32_e32 v6, 0xffff, v6
	s_barrier
	s_and_saveexec_b64 s[4:5], vcc
	s_cbranch_execz .LBB81_4
; %bb.3:                                ;   in Loop: Header=BB81_2 Depth=1
	ds_read_b32 v8, v4
	v_and_b32_e32 v6, 0x100, v6
	s_waitcnt lgkmcnt(0)
	v_cmp_eq_u32_e64 s[2:3], v8, v1
	s_nop 1
	v_cndmask_b32_e64 v8, 0, 1, s[2:3]
	v_or_b32_e32 v6, v8, v6
	v_and_b32_e32 v6, 0xffff, v6
.LBB81_4:                               ;   in Loop: Header=BB81_2 Depth=1
	s_or_b64 exec, exec, s[4:5]
	v_or_b32_e32 v7, 0x100, v7
	v_and_b32_e32 v7, 0xffff, v7
	ds_write_b32 v3, v1 offset:1024
	s_waitcnt lgkmcnt(0)
	s_barrier
	s_and_saveexec_b64 s[4:5], s[0:1]
	s_cbranch_execz .LBB81_1
; %bb.5:                                ;   in Loop: Header=BB81_2 Depth=1
	ds_read_b32 v8, v5 offset:4
	s_waitcnt lgkmcnt(0)
	v_cmp_eq_u32_e64 s[2:3], v8, v2
	s_nop 1
	v_cndmask_b32_e64 v8, 0, 1, s[2:3]
	v_lshlrev_b16_e32 v8, 8, v8
	v_or_b32_sdwa v7, v7, v8 dst_sel:DWORD dst_unused:UNUSED_PAD src0_sel:BYTE_0 src1_sel:DWORD
	v_and_b32_e32 v7, 0xffff, v7
	s_branch .LBB81_1
.LBB81_6:
	s_add_u32 s0, s6, s8
	s_addc_u32 s1, s7, s9
	v_lshlrev_b32_e32 v0, 2, v0
	global_store_dword v0, v1, s[0:1]
	global_store_dword v0, v2, s[0:1] offset:1024
	s_endpgm
	.section	.rodata,"a",@progbits
	.p2align	6, 0x0
	.amdhsa_kernel _Z6kernelI20flag_heads_and_tailsiLj256ELj2ELb0ELj100EEvPKT0_PS1_
		.amdhsa_group_segment_fixed_size 2048
		.amdhsa_private_segment_fixed_size 0
		.amdhsa_kernarg_size 16
		.amdhsa_user_sgpr_count 2
		.amdhsa_user_sgpr_dispatch_ptr 0
		.amdhsa_user_sgpr_queue_ptr 0
		.amdhsa_user_sgpr_kernarg_segment_ptr 1
		.amdhsa_user_sgpr_dispatch_id 0
		.amdhsa_user_sgpr_kernarg_preload_length 0
		.amdhsa_user_sgpr_kernarg_preload_offset 0
		.amdhsa_user_sgpr_private_segment_size 0
		.amdhsa_uses_dynamic_stack 0
		.amdhsa_enable_private_segment 0
		.amdhsa_system_sgpr_workgroup_id_x 1
		.amdhsa_system_sgpr_workgroup_id_y 0
		.amdhsa_system_sgpr_workgroup_id_z 0
		.amdhsa_system_sgpr_workgroup_info 0
		.amdhsa_system_vgpr_workitem_id 0
		.amdhsa_next_free_vgpr 10
		.amdhsa_next_free_sgpr 11
		.amdhsa_accum_offset 12
		.amdhsa_reserve_vcc 1
		.amdhsa_float_round_mode_32 0
		.amdhsa_float_round_mode_16_64 0
		.amdhsa_float_denorm_mode_32 3
		.amdhsa_float_denorm_mode_16_64 3
		.amdhsa_dx10_clamp 1
		.amdhsa_ieee_mode 1
		.amdhsa_fp16_overflow 0
		.amdhsa_tg_split 0
		.amdhsa_exception_fp_ieee_invalid_op 0
		.amdhsa_exception_fp_denorm_src 0
		.amdhsa_exception_fp_ieee_div_zero 0
		.amdhsa_exception_fp_ieee_overflow 0
		.amdhsa_exception_fp_ieee_underflow 0
		.amdhsa_exception_fp_ieee_inexact 0
		.amdhsa_exception_int_div_zero 0
	.end_amdhsa_kernel
	.section	.text._Z6kernelI20flag_heads_and_tailsiLj256ELj2ELb0ELj100EEvPKT0_PS1_,"axG",@progbits,_Z6kernelI20flag_heads_and_tailsiLj256ELj2ELb0ELj100EEvPKT0_PS1_,comdat
.Lfunc_end81:
	.size	_Z6kernelI20flag_heads_and_tailsiLj256ELj2ELb0ELj100EEvPKT0_PS1_, .Lfunc_end81-_Z6kernelI20flag_heads_and_tailsiLj256ELj2ELb0ELj100EEvPKT0_PS1_
                                        ; -- End function
	.section	.AMDGPU.csdata,"",@progbits
; Kernel info:
; codeLenInByte = 392
; NumSgprs: 17
; NumVgprs: 10
; NumAgprs: 0
; TotalNumVgprs: 10
; ScratchSize: 0
; MemoryBound: 0
; FloatMode: 240
; IeeeMode: 1
; LDSByteSize: 2048 bytes/workgroup (compile time only)
; SGPRBlocks: 2
; VGPRBlocks: 1
; NumSGPRsForWavesPerEU: 17
; NumVGPRsForWavesPerEU: 10
; AccumOffset: 12
; Occupancy: 8
; WaveLimiterHint : 1
; COMPUTE_PGM_RSRC2:SCRATCH_EN: 0
; COMPUTE_PGM_RSRC2:USER_SGPR: 2
; COMPUTE_PGM_RSRC2:TRAP_HANDLER: 0
; COMPUTE_PGM_RSRC2:TGID_X_EN: 1
; COMPUTE_PGM_RSRC2:TGID_Y_EN: 0
; COMPUTE_PGM_RSRC2:TGID_Z_EN: 0
; COMPUTE_PGM_RSRC2:TIDIG_COMP_CNT: 0
; COMPUTE_PGM_RSRC3_GFX90A:ACCUM_OFFSET: 2
; COMPUTE_PGM_RSRC3_GFX90A:TG_SPLIT: 0
	.section	.text._Z6kernelI20flag_heads_and_tailsiLj256ELj3ELb0ELj100EEvPKT0_PS1_,"axG",@progbits,_Z6kernelI20flag_heads_and_tailsiLj256ELj3ELb0ELj100EEvPKT0_PS1_,comdat
	.protected	_Z6kernelI20flag_heads_and_tailsiLj256ELj3ELb0ELj100EEvPKT0_PS1_ ; -- Begin function _Z6kernelI20flag_heads_and_tailsiLj256ELj3ELb0ELj100EEvPKT0_PS1_
	.globl	_Z6kernelI20flag_heads_and_tailsiLj256ELj3ELb0ELj100EEvPKT0_PS1_
	.p2align	8
	.type	_Z6kernelI20flag_heads_and_tailsiLj256ELj3ELb0ELj100EEvPKT0_PS1_,@function
_Z6kernelI20flag_heads_and_tailsiLj256ELj3ELb0ELj100EEvPKT0_PS1_: ; @_Z6kernelI20flag_heads_and_tailsiLj256ELj3ELb0ELj100EEvPKT0_PS1_
; %bb.0:
	s_load_dwordx4 s[4:7], s[0:1], 0x0
	s_mul_i32 s0, s2, 0x300
	s_mov_b32 s1, 0
	s_lshl_b64 s[8:9], s[0:1], 2
	v_lshlrev_b32_e32 v4, 2, v0
	s_waitcnt lgkmcnt(0)
	s_add_u32 s0, s4, s8
	s_addc_u32 s1, s5, s9
	global_load_dword v1, v4, s[0:1]
	global_load_dword v2, v4, s[0:1] offset:1024
	global_load_dword v3, v4, s[0:1] offset:2048
	s_movk_i32 s0, 0xff
	v_cmp_ne_u32_e32 vcc, 0, v0
	v_cmp_ne_u32_e64 s[0:1], s0, v0
	v_add_u32_e32 v5, -4, v4
	v_or_b32_e32 v6, 0x400, v4
	s_movk_i32 s10, 0x64
	s_mov_b32 s11, 0x10000
	v_mov_b32_e32 v7, 8
	s_branch .LBB82_2
.LBB82_1:                               ;   in Loop: Header=BB82_2 Depth=1
	s_or_b64 exec, exec, s[4:5]
	v_lshrrev_b32_e32 v10, 16, v8
	v_lshrrev_b32_e32 v11, 16, v9
	v_and_b32_e32 v12, 0xff, v8
	v_and_b32_e32 v13, 0xff, v9
	v_bfe_u32 v8, v8, 8, 8
	v_bfe_u32 v9, v9, 8, 8
	s_add_i32 s10, s10, -1
	v_add3_u32 v1, v1, v12, v13
	v_add3_u32 v2, v2, v8, v9
	;; [unrolled: 1-line block ×3, first 2 shown]
	s_cmp_lg_u32 s10, 0
	s_barrier
	s_cbranch_scc0 .LBB82_6
.LBB82_2:                               ; =>This Inner Loop Header: Depth=1
	s_waitcnt vmcnt(0)
	v_cmp_eq_u32_e64 s[2:3], v2, v3
	ds_write_b32 v4, v3
	s_waitcnt lgkmcnt(0)
	v_cndmask_b32_e64 v9, 0, 1, s[2:3]
	v_cmp_eq_u32_e64 s[2:3], v1, v2
	s_barrier
	s_nop 0
	v_cndmask_b32_e64 v10, 0, 1, s[2:3]
	v_lshlrev_b16_e32 v8, 8, v10
	v_or_b32_e32 v8, 1, v8
	v_and_b32_e32 v8, 0xffff, v8
	v_lshl_or_b32 v8, v9, 16, v8
	s_and_saveexec_b64 s[4:5], vcc
	s_cbranch_execz .LBB82_4
; %bb.3:                                ;   in Loop: Header=BB82_2 Depth=1
	ds_read_b32 v11, v5
	v_lshrrev_b32_sdwa v12, v7, v8 dst_sel:BYTE_1 dst_unused:UNUSED_PAD src0_sel:DWORD src1_sel:DWORD
	s_waitcnt lgkmcnt(0)
	v_cmp_eq_u32_e64 s[2:3], v11, v1
	s_nop 1
	v_cndmask_b32_e64 v11, 0, 1, s[2:3]
	v_or_b32_e32 v11, v11, v12
	v_and_b32_e32 v11, 0xffff, v11
	v_and_or_b32 v8, v8, s11, v11
.LBB82_4:                               ;   in Loop: Header=BB82_2 Depth=1
	s_or_b64 exec, exec, s[4:5]
	v_lshlrev_b16_e32 v9, 8, v9
	v_or_b32_e32 v9, v10, v9
	v_or_b32_sdwa v9, v9, s11 dst_sel:DWORD dst_unused:UNUSED_PAD src0_sel:WORD_0 src1_sel:DWORD
	ds_write_b32 v4, v1 offset:1024
	s_waitcnt lgkmcnt(0)
	s_barrier
	s_and_saveexec_b64 s[4:5], s[0:1]
	s_cbranch_execz .LBB82_1
; %bb.5:                                ;   in Loop: Header=BB82_2 Depth=1
	ds_read_b32 v10, v6 offset:4
	v_lshrrev_b32_sdwa v11, v7, v9 dst_sel:BYTE_1 dst_unused:UNUSED_PAD src0_sel:DWORD src1_sel:DWORD
	s_waitcnt lgkmcnt(0)
	v_cmp_eq_u32_e64 s[2:3], v3, v10
	v_or_b32_sdwa v9, v9, v11 dst_sel:DWORD dst_unused:UNUSED_PAD src0_sel:BYTE_0 src1_sel:DWORD
	v_and_b32_e32 v9, 0xffff, v9
	v_cndmask_b32_e64 v10, 0, 1, s[2:3]
	v_lshl_or_b32 v9, v10, 16, v9
	s_branch .LBB82_1
.LBB82_6:
	s_add_u32 s0, s6, s8
	s_addc_u32 s1, s7, s9
	v_lshlrev_b32_e32 v0, 2, v0
	global_store_dword v0, v1, s[0:1]
	global_store_dword v0, v2, s[0:1] offset:1024
	global_store_dword v0, v3, s[0:1] offset:2048
	s_endpgm
	.section	.rodata,"a",@progbits
	.p2align	6, 0x0
	.amdhsa_kernel _Z6kernelI20flag_heads_and_tailsiLj256ELj3ELb0ELj100EEvPKT0_PS1_
		.amdhsa_group_segment_fixed_size 2048
		.amdhsa_private_segment_fixed_size 0
		.amdhsa_kernarg_size 16
		.amdhsa_user_sgpr_count 2
		.amdhsa_user_sgpr_dispatch_ptr 0
		.amdhsa_user_sgpr_queue_ptr 0
		.amdhsa_user_sgpr_kernarg_segment_ptr 1
		.amdhsa_user_sgpr_dispatch_id 0
		.amdhsa_user_sgpr_kernarg_preload_length 0
		.amdhsa_user_sgpr_kernarg_preload_offset 0
		.amdhsa_user_sgpr_private_segment_size 0
		.amdhsa_uses_dynamic_stack 0
		.amdhsa_enable_private_segment 0
		.amdhsa_system_sgpr_workgroup_id_x 1
		.amdhsa_system_sgpr_workgroup_id_y 0
		.amdhsa_system_sgpr_workgroup_id_z 0
		.amdhsa_system_sgpr_workgroup_info 0
		.amdhsa_system_vgpr_workitem_id 0
		.amdhsa_next_free_vgpr 14
		.amdhsa_next_free_sgpr 12
		.amdhsa_accum_offset 16
		.amdhsa_reserve_vcc 1
		.amdhsa_float_round_mode_32 0
		.amdhsa_float_round_mode_16_64 0
		.amdhsa_float_denorm_mode_32 3
		.amdhsa_float_denorm_mode_16_64 3
		.amdhsa_dx10_clamp 1
		.amdhsa_ieee_mode 1
		.amdhsa_fp16_overflow 0
		.amdhsa_tg_split 0
		.amdhsa_exception_fp_ieee_invalid_op 0
		.amdhsa_exception_fp_denorm_src 0
		.amdhsa_exception_fp_ieee_div_zero 0
		.amdhsa_exception_fp_ieee_overflow 0
		.amdhsa_exception_fp_ieee_underflow 0
		.amdhsa_exception_fp_ieee_inexact 0
		.amdhsa_exception_int_div_zero 0
	.end_amdhsa_kernel
	.section	.text._Z6kernelI20flag_heads_and_tailsiLj256ELj3ELb0ELj100EEvPKT0_PS1_,"axG",@progbits,_Z6kernelI20flag_heads_and_tailsiLj256ELj3ELb0ELj100EEvPKT0_PS1_,comdat
.Lfunc_end82:
	.size	_Z6kernelI20flag_heads_and_tailsiLj256ELj3ELb0ELj100EEvPKT0_PS1_, .Lfunc_end82-_Z6kernelI20flag_heads_and_tailsiLj256ELj3ELb0ELj100EEvPKT0_PS1_
                                        ; -- End function
	.section	.AMDGPU.csdata,"",@progbits
; Kernel info:
; codeLenInByte = 492
; NumSgprs: 18
; NumVgprs: 14
; NumAgprs: 0
; TotalNumVgprs: 14
; ScratchSize: 0
; MemoryBound: 0
; FloatMode: 240
; IeeeMode: 1
; LDSByteSize: 2048 bytes/workgroup (compile time only)
; SGPRBlocks: 2
; VGPRBlocks: 1
; NumSGPRsForWavesPerEU: 18
; NumVGPRsForWavesPerEU: 14
; AccumOffset: 16
; Occupancy: 8
; WaveLimiterHint : 1
; COMPUTE_PGM_RSRC2:SCRATCH_EN: 0
; COMPUTE_PGM_RSRC2:USER_SGPR: 2
; COMPUTE_PGM_RSRC2:TRAP_HANDLER: 0
; COMPUTE_PGM_RSRC2:TGID_X_EN: 1
; COMPUTE_PGM_RSRC2:TGID_Y_EN: 0
; COMPUTE_PGM_RSRC2:TGID_Z_EN: 0
; COMPUTE_PGM_RSRC2:TIDIG_COMP_CNT: 0
; COMPUTE_PGM_RSRC3_GFX90A:ACCUM_OFFSET: 3
; COMPUTE_PGM_RSRC3_GFX90A:TG_SPLIT: 0
	.section	.text._Z6kernelI20flag_heads_and_tailsiLj256ELj4ELb0ELj100EEvPKT0_PS1_,"axG",@progbits,_Z6kernelI20flag_heads_and_tailsiLj256ELj4ELb0ELj100EEvPKT0_PS1_,comdat
	.protected	_Z6kernelI20flag_heads_and_tailsiLj256ELj4ELb0ELj100EEvPKT0_PS1_ ; -- Begin function _Z6kernelI20flag_heads_and_tailsiLj256ELj4ELb0ELj100EEvPKT0_PS1_
	.globl	_Z6kernelI20flag_heads_and_tailsiLj256ELj4ELb0ELj100EEvPKT0_PS1_
	.p2align	8
	.type	_Z6kernelI20flag_heads_and_tailsiLj256ELj4ELb0ELj100EEvPKT0_PS1_,@function
_Z6kernelI20flag_heads_and_tailsiLj256ELj4ELb0ELj100EEvPKT0_PS1_: ; @_Z6kernelI20flag_heads_and_tailsiLj256ELj4ELb0ELj100EEvPKT0_PS1_
; %bb.0:
	s_load_dwordx4 s[4:7], s[0:1], 0x0
	s_lshl_b32 s0, s2, 10
	s_mov_b32 s1, 0
	s_lshl_b64 s[8:9], s[0:1], 2
	v_lshlrev_b32_e32 v5, 2, v0
	s_waitcnt lgkmcnt(0)
	s_add_u32 s0, s4, s8
	s_addc_u32 s1, s5, s9
	global_load_dword v1, v5, s[0:1]
	global_load_dword v2, v5, s[0:1] offset:1024
	global_load_dword v3, v5, s[0:1] offset:2048
	global_load_dword v4, v5, s[0:1] offset:3072
	s_movk_i32 s10, 0xff
	v_cmp_ne_u32_e32 vcc, 0, v0
	v_cmp_ne_u32_e64 s[0:1], s10, v0
	v_add_u32_e32 v6, -4, v5
	v_or_b32_e32 v7, 0x400, v5
	s_movk_i32 s11, 0x64
	s_mov_b32 s12, 0xffff
	s_mov_b32 s13, 0x1ff0000
	s_movk_i32 s14, 0x100
	s_branch .LBB83_2
.LBB83_1:                               ;   in Loop: Header=BB83_2 Depth=1
	s_or_b64 exec, exec, s[4:5]
	v_and_b32_e32 v10, 0xff, v8
	v_and_b32_e32 v11, 0xff, v9
	v_add3_u32 v1, v1, v10, v11
	v_bfe_u32 v10, v8, 8, 8
	v_bfe_u32 v11, v9, 8, 8
	v_add3_u32 v2, v2, v10, v11
	v_bfe_u32 v10, v8, 16, 8
	v_bfe_u32 v11, v9, 16, 8
	v_lshrrev_b32_e32 v8, 24, v8
	v_lshrrev_b32_e32 v9, 24, v9
	s_add_i32 s11, s11, -1
	v_add3_u32 v3, v3, v10, v11
	v_add3_u32 v4, v4, v8, v9
	s_cmp_lg_u32 s11, 0
	s_barrier
	s_cbranch_scc0 .LBB83_6
.LBB83_2:                               ; =>This Inner Loop Header: Depth=1
	s_waitcnt vmcnt(0)
	v_cmp_eq_u32_e64 s[2:3], v3, v4
	ds_write_b32 v5, v4
	s_waitcnt lgkmcnt(0)
	v_cndmask_b32_e64 v9, 0, 1, s[2:3]
	v_cmp_eq_u32_e64 s[2:3], v2, v3
	v_lshlrev_b16_e32 v8, 8, v9
	s_barrier
	v_cndmask_b32_e64 v10, 0, 1, s[2:3]
	v_cmp_eq_u32_e64 s[2:3], v1, v2
	v_or_b32_sdwa v8, v10, v8 dst_sel:WORD_1 dst_unused:UNUSED_PAD src0_sel:DWORD src1_sel:DWORD
	s_nop 0
	v_cndmask_b32_e64 v11, 0, 1, s[2:3]
	v_lshlrev_b16_e32 v12, 8, v11
	v_or_b32_e32 v12, 1, v12
	v_or_b32_sdwa v8, v12, v8 dst_sel:DWORD dst_unused:UNUSED_PAD src0_sel:WORD_0 src1_sel:DWORD
	s_and_saveexec_b64 s[4:5], vcc
	s_cbranch_execz .LBB83_4
; %bb.3:                                ;   in Loop: Header=BB83_2 Depth=1
	ds_read_b32 v12, v6
	v_and_b32_e32 v13, 0xffffff00, v8
	s_waitcnt lgkmcnt(0)
	v_cmp_eq_u32_e64 s[2:3], v12, v1
	s_nop 1
	v_cndmask_b32_e64 v12, 0, 1, s[2:3]
	v_or_b32_e32 v12, v12, v13
	v_and_b32_e32 v12, 0xffff, v12
	v_and_or_b32 v8, v8, s13, v12
.LBB83_4:                               ;   in Loop: Header=BB83_2 Depth=1
	s_or_b64 exec, exec, s[4:5]
	v_lshlrev_b16_e32 v10, 8, v10
	v_or_b32_e32 v10, v11, v10
	v_or_b32_sdwa v9, v9, s14 dst_sel:WORD_1 dst_unused:UNUSED_PAD src0_sel:DWORD src1_sel:DWORD
	ds_write_b32 v5, v1 offset:1024
	v_or_b32_sdwa v9, v10, v9 dst_sel:DWORD dst_unused:UNUSED_PAD src0_sel:WORD_0 src1_sel:DWORD
	s_waitcnt lgkmcnt(0)
	s_barrier
	s_and_saveexec_b64 s[4:5], s[0:1]
	s_cbranch_execz .LBB83_1
; %bb.5:                                ;   in Loop: Header=BB83_2 Depth=1
	ds_read_b32 v10, v7 offset:4
	v_and_b32_sdwa v11, v9, s10 dst_sel:DWORD dst_unused:UNUSED_PAD src0_sel:WORD_1 src1_sel:DWORD
	s_waitcnt lgkmcnt(0)
	v_cmp_eq_u32_e64 s[2:3], v4, v10
	s_nop 1
	v_cndmask_b32_e64 v10, 0, 1, s[2:3]
	v_lshlrev_b16_e32 v10, 8, v10
	v_or_b32_sdwa v10, v11, v10 dst_sel:WORD_1 dst_unused:UNUSED_PAD src0_sel:DWORD src1_sel:DWORD
	s_nop 0
	v_and_or_b32 v9, v9, s12, v10
	s_branch .LBB83_1
.LBB83_6:
	s_add_u32 s0, s6, s8
	s_addc_u32 s1, s7, s9
	v_lshlrev_b32_e32 v0, 2, v0
	global_store_dword v0, v1, s[0:1]
	global_store_dword v0, v2, s[0:1] offset:1024
	global_store_dword v0, v3, s[0:1] offset:2048
	;; [unrolled: 1-line block ×3, first 2 shown]
	s_endpgm
	.section	.rodata,"a",@progbits
	.p2align	6, 0x0
	.amdhsa_kernel _Z6kernelI20flag_heads_and_tailsiLj256ELj4ELb0ELj100EEvPKT0_PS1_
		.amdhsa_group_segment_fixed_size 2048
		.amdhsa_private_segment_fixed_size 0
		.amdhsa_kernarg_size 16
		.amdhsa_user_sgpr_count 2
		.amdhsa_user_sgpr_dispatch_ptr 0
		.amdhsa_user_sgpr_queue_ptr 0
		.amdhsa_user_sgpr_kernarg_segment_ptr 1
		.amdhsa_user_sgpr_dispatch_id 0
		.amdhsa_user_sgpr_kernarg_preload_length 0
		.amdhsa_user_sgpr_kernarg_preload_offset 0
		.amdhsa_user_sgpr_private_segment_size 0
		.amdhsa_uses_dynamic_stack 0
		.amdhsa_enable_private_segment 0
		.amdhsa_system_sgpr_workgroup_id_x 1
		.amdhsa_system_sgpr_workgroup_id_y 0
		.amdhsa_system_sgpr_workgroup_id_z 0
		.amdhsa_system_sgpr_workgroup_info 0
		.amdhsa_system_vgpr_workitem_id 0
		.amdhsa_next_free_vgpr 14
		.amdhsa_next_free_sgpr 15
		.amdhsa_accum_offset 16
		.amdhsa_reserve_vcc 1
		.amdhsa_float_round_mode_32 0
		.amdhsa_float_round_mode_16_64 0
		.amdhsa_float_denorm_mode_32 3
		.amdhsa_float_denorm_mode_16_64 3
		.amdhsa_dx10_clamp 1
		.amdhsa_ieee_mode 1
		.amdhsa_fp16_overflow 0
		.amdhsa_tg_split 0
		.amdhsa_exception_fp_ieee_invalid_op 0
		.amdhsa_exception_fp_denorm_src 0
		.amdhsa_exception_fp_ieee_div_zero 0
		.amdhsa_exception_fp_ieee_overflow 0
		.amdhsa_exception_fp_ieee_underflow 0
		.amdhsa_exception_fp_ieee_inexact 0
		.amdhsa_exception_int_div_zero 0
	.end_amdhsa_kernel
	.section	.text._Z6kernelI20flag_heads_and_tailsiLj256ELj4ELb0ELj100EEvPKT0_PS1_,"axG",@progbits,_Z6kernelI20flag_heads_and_tailsiLj256ELj4ELb0ELj100EEvPKT0_PS1_,comdat
.Lfunc_end83:
	.size	_Z6kernelI20flag_heads_and_tailsiLj256ELj4ELb0ELj100EEvPKT0_PS1_, .Lfunc_end83-_Z6kernelI20flag_heads_and_tailsiLj256ELj4ELb0ELj100EEvPKT0_PS1_
                                        ; -- End function
	.section	.AMDGPU.csdata,"",@progbits
; Kernel info:
; codeLenInByte = 568
; NumSgprs: 21
; NumVgprs: 14
; NumAgprs: 0
; TotalNumVgprs: 14
; ScratchSize: 0
; MemoryBound: 0
; FloatMode: 240
; IeeeMode: 1
; LDSByteSize: 2048 bytes/workgroup (compile time only)
; SGPRBlocks: 2
; VGPRBlocks: 1
; NumSGPRsForWavesPerEU: 21
; NumVGPRsForWavesPerEU: 14
; AccumOffset: 16
; Occupancy: 8
; WaveLimiterHint : 1
; COMPUTE_PGM_RSRC2:SCRATCH_EN: 0
; COMPUTE_PGM_RSRC2:USER_SGPR: 2
; COMPUTE_PGM_RSRC2:TRAP_HANDLER: 0
; COMPUTE_PGM_RSRC2:TGID_X_EN: 1
; COMPUTE_PGM_RSRC2:TGID_Y_EN: 0
; COMPUTE_PGM_RSRC2:TGID_Z_EN: 0
; COMPUTE_PGM_RSRC2:TIDIG_COMP_CNT: 0
; COMPUTE_PGM_RSRC3_GFX90A:ACCUM_OFFSET: 3
; COMPUTE_PGM_RSRC3_GFX90A:TG_SPLIT: 0
	.section	.text._Z6kernelI20flag_heads_and_tailsiLj256ELj8ELb0ELj100EEvPKT0_PS1_,"axG",@progbits,_Z6kernelI20flag_heads_and_tailsiLj256ELj8ELb0ELj100EEvPKT0_PS1_,comdat
	.protected	_Z6kernelI20flag_heads_and_tailsiLj256ELj8ELb0ELj100EEvPKT0_PS1_ ; -- Begin function _Z6kernelI20flag_heads_and_tailsiLj256ELj8ELb0ELj100EEvPKT0_PS1_
	.globl	_Z6kernelI20flag_heads_and_tailsiLj256ELj8ELb0ELj100EEvPKT0_PS1_
	.p2align	8
	.type	_Z6kernelI20flag_heads_and_tailsiLj256ELj8ELb0ELj100EEvPKT0_PS1_,@function
_Z6kernelI20flag_heads_and_tailsiLj256ELj8ELb0ELj100EEvPKT0_PS1_: ; @_Z6kernelI20flag_heads_and_tailsiLj256ELj8ELb0ELj100EEvPKT0_PS1_
; %bb.0:
	s_load_dwordx4 s[4:7], s[0:1], 0x0
	s_lshl_b32 s0, s2, 11
	s_mov_b32 s1, 0
	s_lshl_b64 s[8:9], s[0:1], 2
	v_mov_b32_e32 v3, 0
	s_waitcnt lgkmcnt(0)
	s_add_u32 s0, s4, s8
	s_addc_u32 s1, s5, s9
	v_lshlrev_b32_e32 v2, 2, v0
	v_lshl_add_u64 v[6:7], s[0:1], 0, v[2:3]
	s_movk_i32 s2, 0x1000
	v_add_co_u32_e32 v10, vcc, s2, v6
	global_load_dword v1, v2, s[0:1] offset:1024
	global_load_dword v3, v2, s[0:1] offset:2048
	;; [unrolled: 1-line block ×3, first 2 shown]
	v_addc_co_u32_e32 v11, vcc, 0, v7, vcc
	global_load_dword v5, v[10:11], off
	global_load_dword v6, v[10:11], off offset:1024
	global_load_dword v7, v[10:11], off offset:2048
	global_load_dword v9, v2, s[0:1]
	global_load_dword v8, v[10:11], off offset:3072
	s_movk_i32 s0, 0xff
	v_cmp_ne_u32_e32 vcc, 0, v0
	v_cmp_ne_u32_e64 s[0:1], s0, v0
	v_add_u32_e32 v10, -4, v2
	v_or_b32_e32 v11, 0x400, v2
	s_movk_i32 s10, 0x64
	s_branch .LBB84_2
.LBB84_1:                               ;   in Loop: Header=BB84_2 Depth=1
	s_or_b64 exec, exec, s[4:5]
	v_cmp_eq_u32_e64 s[2:3], v9, v1
	s_add_i32 s10, s10, -1
	s_cmp_lg_u32 s10, 0
	v_cndmask_b32_e64 v14, 0, 1, s[2:3]
	v_addc_co_u32_e64 v9, s[2:3], v13, v9, s[2:3]
	v_cmp_eq_u32_e64 s[2:3], v1, v3
	s_barrier
	s_nop 0
	v_cndmask_b32_e64 v13, 0, 1, s[2:3]
	v_addc_co_u32_e64 v1, s[2:3], v1, v14, s[2:3]
	v_cmp_eq_u32_e64 s[2:3], v3, v4
	s_nop 1
	v_cndmask_b32_e64 v14, 0, 1, s[2:3]
	v_addc_co_u32_e64 v3, s[2:3], v3, v13, s[2:3]
	v_cmp_eq_u32_e64 s[2:3], v4, v5
	;; [unrolled: 4-line block ×5, first 2 shown]
	s_nop 1
	v_addc_co_u32_e64 v7, s[4:5], v7, v13, s[2:3]
	v_addc_co_u32_e64 v8, s[2:3], v12, v8, s[2:3]
	s_cbranch_scc0 .LBB84_6
.LBB84_2:                               ; =>This Inner Loop Header: Depth=1
	v_mov_b32_e32 v12, 1
	v_mov_b32_e32 v13, 1
	s_waitcnt vmcnt(0)
	ds_write_b32 v2, v8
	s_waitcnt lgkmcnt(0)
	s_barrier
	s_and_saveexec_b64 s[4:5], vcc
	s_cbranch_execz .LBB84_4
; %bb.3:                                ;   in Loop: Header=BB84_2 Depth=1
	ds_read_b32 v13, v10
	s_waitcnt lgkmcnt(0)
	v_cmp_eq_u32_e64 s[2:3], v13, v9
	s_nop 1
	v_cndmask_b32_e64 v13, 0, 1, s[2:3]
.LBB84_4:                               ;   in Loop: Header=BB84_2 Depth=1
	s_or_b64 exec, exec, s[4:5]
	ds_write_b32 v2, v9 offset:1024
	s_waitcnt lgkmcnt(0)
	s_barrier
	s_and_saveexec_b64 s[4:5], s[0:1]
	s_cbranch_execz .LBB84_1
; %bb.5:                                ;   in Loop: Header=BB84_2 Depth=1
	ds_read_b32 v12, v11 offset:4
	s_waitcnt lgkmcnt(0)
	v_cmp_eq_u32_e64 s[2:3], v8, v12
	s_nop 1
	v_cndmask_b32_e64 v12, 0, 1, s[2:3]
	s_branch .LBB84_1
.LBB84_6:
	s_add_u32 s0, s6, s8
	s_addc_u32 s1, s7, s9
	v_lshlrev_b32_e32 v10, 2, v0
	v_mov_b32_e32 v11, 0
	v_lshl_add_u64 v[12:13], s[0:1], 0, v[10:11]
	v_add_co_u32_e32 v0, vcc, 0x1000, v12
	global_store_dword v10, v9, s[0:1]
	global_store_dword v10, v1, s[0:1] offset:1024
	global_store_dword v10, v3, s[0:1] offset:2048
	;; [unrolled: 1-line block ×3, first 2 shown]
	v_addc_co_u32_e32 v1, vcc, 0, v13, vcc
	global_store_dword v[0:1], v5, off
	global_store_dword v[0:1], v6, off offset:1024
	global_store_dword v[0:1], v7, off offset:2048
	;; [unrolled: 1-line block ×3, first 2 shown]
	s_endpgm
	.section	.rodata,"a",@progbits
	.p2align	6, 0x0
	.amdhsa_kernel _Z6kernelI20flag_heads_and_tailsiLj256ELj8ELb0ELj100EEvPKT0_PS1_
		.amdhsa_group_segment_fixed_size 2048
		.amdhsa_private_segment_fixed_size 0
		.amdhsa_kernarg_size 16
		.amdhsa_user_sgpr_count 2
		.amdhsa_user_sgpr_dispatch_ptr 0
		.amdhsa_user_sgpr_queue_ptr 0
		.amdhsa_user_sgpr_kernarg_segment_ptr 1
		.amdhsa_user_sgpr_dispatch_id 0
		.amdhsa_user_sgpr_kernarg_preload_length 0
		.amdhsa_user_sgpr_kernarg_preload_offset 0
		.amdhsa_user_sgpr_private_segment_size 0
		.amdhsa_uses_dynamic_stack 0
		.amdhsa_enable_private_segment 0
		.amdhsa_system_sgpr_workgroup_id_x 1
		.amdhsa_system_sgpr_workgroup_id_y 0
		.amdhsa_system_sgpr_workgroup_id_z 0
		.amdhsa_system_sgpr_workgroup_info 0
		.amdhsa_system_vgpr_workitem_id 0
		.amdhsa_next_free_vgpr 15
		.amdhsa_next_free_sgpr 11
		.amdhsa_accum_offset 16
		.amdhsa_reserve_vcc 1
		.amdhsa_float_round_mode_32 0
		.amdhsa_float_round_mode_16_64 0
		.amdhsa_float_denorm_mode_32 3
		.amdhsa_float_denorm_mode_16_64 3
		.amdhsa_dx10_clamp 1
		.amdhsa_ieee_mode 1
		.amdhsa_fp16_overflow 0
		.amdhsa_tg_split 0
		.amdhsa_exception_fp_ieee_invalid_op 0
		.amdhsa_exception_fp_denorm_src 0
		.amdhsa_exception_fp_ieee_div_zero 0
		.amdhsa_exception_fp_ieee_overflow 0
		.amdhsa_exception_fp_ieee_underflow 0
		.amdhsa_exception_fp_ieee_inexact 0
		.amdhsa_exception_int_div_zero 0
	.end_amdhsa_kernel
	.section	.text._Z6kernelI20flag_heads_and_tailsiLj256ELj8ELb0ELj100EEvPKT0_PS1_,"axG",@progbits,_Z6kernelI20flag_heads_and_tailsiLj256ELj8ELb0ELj100EEvPKT0_PS1_,comdat
.Lfunc_end84:
	.size	_Z6kernelI20flag_heads_and_tailsiLj256ELj8ELb0ELj100EEvPKT0_PS1_, .Lfunc_end84-_Z6kernelI20flag_heads_and_tailsiLj256ELj8ELb0ELj100EEvPKT0_PS1_
                                        ; -- End function
	.section	.AMDGPU.csdata,"",@progbits
; Kernel info:
; codeLenInByte = 608
; NumSgprs: 17
; NumVgprs: 15
; NumAgprs: 0
; TotalNumVgprs: 15
; ScratchSize: 0
; MemoryBound: 0
; FloatMode: 240
; IeeeMode: 1
; LDSByteSize: 2048 bytes/workgroup (compile time only)
; SGPRBlocks: 2
; VGPRBlocks: 1
; NumSGPRsForWavesPerEU: 17
; NumVGPRsForWavesPerEU: 15
; AccumOffset: 16
; Occupancy: 8
; WaveLimiterHint : 1
; COMPUTE_PGM_RSRC2:SCRATCH_EN: 0
; COMPUTE_PGM_RSRC2:USER_SGPR: 2
; COMPUTE_PGM_RSRC2:TRAP_HANDLER: 0
; COMPUTE_PGM_RSRC2:TGID_X_EN: 1
; COMPUTE_PGM_RSRC2:TGID_Y_EN: 0
; COMPUTE_PGM_RSRC2:TGID_Z_EN: 0
; COMPUTE_PGM_RSRC2:TIDIG_COMP_CNT: 0
; COMPUTE_PGM_RSRC3_GFX90A:ACCUM_OFFSET: 3
; COMPUTE_PGM_RSRC3_GFX90A:TG_SPLIT: 0
	.section	.text._Z6kernelI20flag_heads_and_tailsiLj256ELj1ELb1ELj100EEvPKT0_PS1_,"axG",@progbits,_Z6kernelI20flag_heads_and_tailsiLj256ELj1ELb1ELj100EEvPKT0_PS1_,comdat
	.protected	_Z6kernelI20flag_heads_and_tailsiLj256ELj1ELb1ELj100EEvPKT0_PS1_ ; -- Begin function _Z6kernelI20flag_heads_and_tailsiLj256ELj1ELb1ELj100EEvPKT0_PS1_
	.globl	_Z6kernelI20flag_heads_and_tailsiLj256ELj1ELb1ELj100EEvPKT0_PS1_
	.p2align	8
	.type	_Z6kernelI20flag_heads_and_tailsiLj256ELj1ELb1ELj100EEvPKT0_PS1_,@function
_Z6kernelI20flag_heads_and_tailsiLj256ELj1ELb1ELj100EEvPKT0_PS1_: ; @_Z6kernelI20flag_heads_and_tailsiLj256ELj1ELb1ELj100EEvPKT0_PS1_
; %bb.0:
	s_load_dwordx4 s[4:7], s[0:1], 0x0
	s_lshl_b32 s0, s2, 8
	s_mov_b32 s1, 0
	s_lshl_b64 s[8:9], s[0:1], 2
	v_lshlrev_b32_e32 v2, 2, v0
	s_waitcnt lgkmcnt(0)
	s_add_u32 s0, s4, s8
	s_addc_u32 s1, s5, s9
	global_load_dword v1, v2, s[0:1]
	s_movk_i32 s0, 0xff
	v_cmp_ne_u32_e32 vcc, 0, v0
	v_cmp_ne_u32_e64 s[0:1], s0, v0
	v_add_u32_e32 v3, -4, v2
	v_or_b32_e32 v4, 0x400, v2
	s_movk_i32 s4, 0x64
	s_branch .LBB85_2
.LBB85_1:                               ;   in Loop: Header=BB85_2 Depth=1
	s_or_b64 exec, exec, s[2:3]
	v_cmp_eq_u32_e64 s[2:3], v5, v1
	s_add_i32 s4, s4, -1
	s_cmp_lg_u32 s4, 0
	v_cndmask_b32_e64 v5, 0, 1, s[2:3]
	s_waitcnt lgkmcnt(0)
	v_cmp_eq_u32_e64 s[2:3], v6, v1
	s_barrier
	s_nop 0
	v_addc_co_u32_e64 v1, s[2:3], v1, v5, s[2:3]
	s_cbranch_scc0 .LBB85_6
.LBB85_2:                               ; =>This Inner Loop Header: Depth=1
	v_mov_b32_e32 v5, 0x7b
	s_waitcnt vmcnt(0)
	ds_write_b32 v2, v1
	s_waitcnt lgkmcnt(0)
	s_barrier
	s_and_saveexec_b64 s[2:3], vcc
	s_cbranch_execz .LBB85_4
; %bb.3:                                ;   in Loop: Header=BB85_2 Depth=1
	ds_read_b32 v5, v3
.LBB85_4:                               ;   in Loop: Header=BB85_2 Depth=1
	s_or_b64 exec, exec, s[2:3]
	v_mov_b32_e32 v6, 0xea
	ds_write_b32 v2, v1 offset:1024
	s_waitcnt lgkmcnt(0)
	s_barrier
	s_and_saveexec_b64 s[2:3], s[0:1]
	s_cbranch_execz .LBB85_1
; %bb.5:                                ;   in Loop: Header=BB85_2 Depth=1
	ds_read_b32 v6, v4 offset:4
	s_branch .LBB85_1
.LBB85_6:
	s_add_u32 s0, s6, s8
	s_addc_u32 s1, s7, s9
	v_lshlrev_b32_e32 v0, 2, v0
	global_store_dword v0, v1, s[0:1]
	s_endpgm
	.section	.rodata,"a",@progbits
	.p2align	6, 0x0
	.amdhsa_kernel _Z6kernelI20flag_heads_and_tailsiLj256ELj1ELb1ELj100EEvPKT0_PS1_
		.amdhsa_group_segment_fixed_size 2048
		.amdhsa_private_segment_fixed_size 0
		.amdhsa_kernarg_size 16
		.amdhsa_user_sgpr_count 2
		.amdhsa_user_sgpr_dispatch_ptr 0
		.amdhsa_user_sgpr_queue_ptr 0
		.amdhsa_user_sgpr_kernarg_segment_ptr 1
		.amdhsa_user_sgpr_dispatch_id 0
		.amdhsa_user_sgpr_kernarg_preload_length 0
		.amdhsa_user_sgpr_kernarg_preload_offset 0
		.amdhsa_user_sgpr_private_segment_size 0
		.amdhsa_uses_dynamic_stack 0
		.amdhsa_enable_private_segment 0
		.amdhsa_system_sgpr_workgroup_id_x 1
		.amdhsa_system_sgpr_workgroup_id_y 0
		.amdhsa_system_sgpr_workgroup_id_z 0
		.amdhsa_system_sgpr_workgroup_info 0
		.amdhsa_system_vgpr_workitem_id 0
		.amdhsa_next_free_vgpr 7
		.amdhsa_next_free_sgpr 10
		.amdhsa_accum_offset 8
		.amdhsa_reserve_vcc 1
		.amdhsa_float_round_mode_32 0
		.amdhsa_float_round_mode_16_64 0
		.amdhsa_float_denorm_mode_32 3
		.amdhsa_float_denorm_mode_16_64 3
		.amdhsa_dx10_clamp 1
		.amdhsa_ieee_mode 1
		.amdhsa_fp16_overflow 0
		.amdhsa_tg_split 0
		.amdhsa_exception_fp_ieee_invalid_op 0
		.amdhsa_exception_fp_denorm_src 0
		.amdhsa_exception_fp_ieee_div_zero 0
		.amdhsa_exception_fp_ieee_overflow 0
		.amdhsa_exception_fp_ieee_underflow 0
		.amdhsa_exception_fp_ieee_inexact 0
		.amdhsa_exception_int_div_zero 0
	.end_amdhsa_kernel
	.section	.text._Z6kernelI20flag_heads_and_tailsiLj256ELj1ELb1ELj100EEvPKT0_PS1_,"axG",@progbits,_Z6kernelI20flag_heads_and_tailsiLj256ELj1ELb1ELj100EEvPKT0_PS1_,comdat
.Lfunc_end85:
	.size	_Z6kernelI20flag_heads_and_tailsiLj256ELj1ELb1ELj100EEvPKT0_PS1_, .Lfunc_end85-_Z6kernelI20flag_heads_and_tailsiLj256ELj1ELb1ELj100EEvPKT0_PS1_
                                        ; -- End function
	.section	.AMDGPU.csdata,"",@progbits
; Kernel info:
; codeLenInByte = 256
; NumSgprs: 16
; NumVgprs: 7
; NumAgprs: 0
; TotalNumVgprs: 7
; ScratchSize: 0
; MemoryBound: 0
; FloatMode: 240
; IeeeMode: 1
; LDSByteSize: 2048 bytes/workgroup (compile time only)
; SGPRBlocks: 1
; VGPRBlocks: 0
; NumSGPRsForWavesPerEU: 16
; NumVGPRsForWavesPerEU: 7
; AccumOffset: 8
; Occupancy: 8
; WaveLimiterHint : 0
; COMPUTE_PGM_RSRC2:SCRATCH_EN: 0
; COMPUTE_PGM_RSRC2:USER_SGPR: 2
; COMPUTE_PGM_RSRC2:TRAP_HANDLER: 0
; COMPUTE_PGM_RSRC2:TGID_X_EN: 1
; COMPUTE_PGM_RSRC2:TGID_Y_EN: 0
; COMPUTE_PGM_RSRC2:TGID_Z_EN: 0
; COMPUTE_PGM_RSRC2:TIDIG_COMP_CNT: 0
; COMPUTE_PGM_RSRC3_GFX90A:ACCUM_OFFSET: 1
; COMPUTE_PGM_RSRC3_GFX90A:TG_SPLIT: 0
	.section	.text._Z6kernelI20flag_heads_and_tailsiLj256ELj2ELb1ELj100EEvPKT0_PS1_,"axG",@progbits,_Z6kernelI20flag_heads_and_tailsiLj256ELj2ELb1ELj100EEvPKT0_PS1_,comdat
	.protected	_Z6kernelI20flag_heads_and_tailsiLj256ELj2ELb1ELj100EEvPKT0_PS1_ ; -- Begin function _Z6kernelI20flag_heads_and_tailsiLj256ELj2ELb1ELj100EEvPKT0_PS1_
	.globl	_Z6kernelI20flag_heads_and_tailsiLj256ELj2ELb1ELj100EEvPKT0_PS1_
	.p2align	8
	.type	_Z6kernelI20flag_heads_and_tailsiLj256ELj2ELb1ELj100EEvPKT0_PS1_,@function
_Z6kernelI20flag_heads_and_tailsiLj256ELj2ELb1ELj100EEvPKT0_PS1_: ; @_Z6kernelI20flag_heads_and_tailsiLj256ELj2ELb1ELj100EEvPKT0_PS1_
; %bb.0:
	s_load_dwordx4 s[4:7], s[0:1], 0x0
	s_lshl_b32 s0, s2, 9
	s_mov_b32 s1, 0
	s_lshl_b64 s[8:9], s[0:1], 2
	v_lshlrev_b32_e32 v3, 2, v0
	s_waitcnt lgkmcnt(0)
	s_add_u32 s0, s4, s8
	s_addc_u32 s1, s5, s9
	global_load_dword v1, v3, s[0:1]
	global_load_dword v2, v3, s[0:1] offset:1024
	s_movk_i32 s0, 0xff
	v_cmp_ne_u32_e32 vcc, 0, v0
	v_cmp_ne_u32_e64 s[0:1], s0, v0
	v_add_u32_e32 v4, -4, v3
	v_or_b32_e32 v5, 0x400, v3
	s_movk_i32 s4, 0x64
	s_branch .LBB86_2
.LBB86_1:                               ;   in Loop: Header=BB86_2 Depth=1
	s_or_b64 exec, exec, s[2:3]
	v_cmp_eq_u32_e64 s[2:3], v1, v2
	s_add_i32 s4, s4, -1
	s_cmp_lg_u32 s4, 0
	v_cndmask_b32_e64 v8, 0, 1, s[2:3]
	v_cmp_eq_u32_e64 s[2:3], v6, v1
	s_waitcnt lgkmcnt(0)
	s_barrier
	v_addc_co_u32_e64 v1, s[2:3], v1, v8, s[2:3]
	v_cmp_eq_u32_e64 s[2:3], v7, v2
	s_nop 1
	v_addc_co_u32_e64 v2, s[2:3], v2, v8, s[2:3]
	s_cbranch_scc0 .LBB86_6
.LBB86_2:                               ; =>This Inner Loop Header: Depth=1
	v_mov_b32_e32 v6, 0x7b
	s_waitcnt vmcnt(0)
	ds_write_b32 v3, v2
	s_waitcnt lgkmcnt(0)
	s_barrier
	s_and_saveexec_b64 s[2:3], vcc
	s_cbranch_execz .LBB86_4
; %bb.3:                                ;   in Loop: Header=BB86_2 Depth=1
	ds_read_b32 v6, v4
.LBB86_4:                               ;   in Loop: Header=BB86_2 Depth=1
	s_or_b64 exec, exec, s[2:3]
	v_mov_b32_e32 v7, 0xea
	ds_write_b32 v3, v1 offset:1024
	s_waitcnt lgkmcnt(0)
	s_barrier
	s_and_saveexec_b64 s[2:3], s[0:1]
	s_cbranch_execz .LBB86_1
; %bb.5:                                ;   in Loop: Header=BB86_2 Depth=1
	ds_read_b32 v7, v5 offset:4
	s_branch .LBB86_1
.LBB86_6:
	s_add_u32 s0, s6, s8
	s_addc_u32 s1, s7, s9
	v_lshlrev_b32_e32 v0, 2, v0
	global_store_dword v0, v1, s[0:1]
	global_store_dword v0, v2, s[0:1] offset:1024
	s_endpgm
	.section	.rodata,"a",@progbits
	.p2align	6, 0x0
	.amdhsa_kernel _Z6kernelI20flag_heads_and_tailsiLj256ELj2ELb1ELj100EEvPKT0_PS1_
		.amdhsa_group_segment_fixed_size 2048
		.amdhsa_private_segment_fixed_size 0
		.amdhsa_kernarg_size 16
		.amdhsa_user_sgpr_count 2
		.amdhsa_user_sgpr_dispatch_ptr 0
		.amdhsa_user_sgpr_queue_ptr 0
		.amdhsa_user_sgpr_kernarg_segment_ptr 1
		.amdhsa_user_sgpr_dispatch_id 0
		.amdhsa_user_sgpr_kernarg_preload_length 0
		.amdhsa_user_sgpr_kernarg_preload_offset 0
		.amdhsa_user_sgpr_private_segment_size 0
		.amdhsa_uses_dynamic_stack 0
		.amdhsa_enable_private_segment 0
		.amdhsa_system_sgpr_workgroup_id_x 1
		.amdhsa_system_sgpr_workgroup_id_y 0
		.amdhsa_system_sgpr_workgroup_id_z 0
		.amdhsa_system_sgpr_workgroup_info 0
		.amdhsa_system_vgpr_workitem_id 0
		.amdhsa_next_free_vgpr 9
		.amdhsa_next_free_sgpr 10
		.amdhsa_accum_offset 12
		.amdhsa_reserve_vcc 1
		.amdhsa_float_round_mode_32 0
		.amdhsa_float_round_mode_16_64 0
		.amdhsa_float_denorm_mode_32 3
		.amdhsa_float_denorm_mode_16_64 3
		.amdhsa_dx10_clamp 1
		.amdhsa_ieee_mode 1
		.amdhsa_fp16_overflow 0
		.amdhsa_tg_split 0
		.amdhsa_exception_fp_ieee_invalid_op 0
		.amdhsa_exception_fp_denorm_src 0
		.amdhsa_exception_fp_ieee_div_zero 0
		.amdhsa_exception_fp_ieee_overflow 0
		.amdhsa_exception_fp_ieee_underflow 0
		.amdhsa_exception_fp_ieee_inexact 0
		.amdhsa_exception_int_div_zero 0
	.end_amdhsa_kernel
	.section	.text._Z6kernelI20flag_heads_and_tailsiLj256ELj2ELb1ELj100EEvPKT0_PS1_,"axG",@progbits,_Z6kernelI20flag_heads_and_tailsiLj256ELj2ELb1ELj100EEvPKT0_PS1_,comdat
.Lfunc_end86:
	.size	_Z6kernelI20flag_heads_and_tailsiLj256ELj2ELb1ELj100EEvPKT0_PS1_, .Lfunc_end86-_Z6kernelI20flag_heads_and_tailsiLj256ELj2ELb1ELj100EEvPKT0_PS1_
                                        ; -- End function
	.section	.AMDGPU.csdata,"",@progbits
; Kernel info:
; codeLenInByte = 288
; NumSgprs: 16
; NumVgprs: 9
; NumAgprs: 0
; TotalNumVgprs: 9
; ScratchSize: 0
; MemoryBound: 0
; FloatMode: 240
; IeeeMode: 1
; LDSByteSize: 2048 bytes/workgroup (compile time only)
; SGPRBlocks: 1
; VGPRBlocks: 1
; NumSGPRsForWavesPerEU: 16
; NumVGPRsForWavesPerEU: 9
; AccumOffset: 12
; Occupancy: 8
; WaveLimiterHint : 1
; COMPUTE_PGM_RSRC2:SCRATCH_EN: 0
; COMPUTE_PGM_RSRC2:USER_SGPR: 2
; COMPUTE_PGM_RSRC2:TRAP_HANDLER: 0
; COMPUTE_PGM_RSRC2:TGID_X_EN: 1
; COMPUTE_PGM_RSRC2:TGID_Y_EN: 0
; COMPUTE_PGM_RSRC2:TGID_Z_EN: 0
; COMPUTE_PGM_RSRC2:TIDIG_COMP_CNT: 0
; COMPUTE_PGM_RSRC3_GFX90A:ACCUM_OFFSET: 2
; COMPUTE_PGM_RSRC3_GFX90A:TG_SPLIT: 0
	.section	.text._Z6kernelI20flag_heads_and_tailsiLj256ELj3ELb1ELj100EEvPKT0_PS1_,"axG",@progbits,_Z6kernelI20flag_heads_and_tailsiLj256ELj3ELb1ELj100EEvPKT0_PS1_,comdat
	.protected	_Z6kernelI20flag_heads_and_tailsiLj256ELj3ELb1ELj100EEvPKT0_PS1_ ; -- Begin function _Z6kernelI20flag_heads_and_tailsiLj256ELj3ELb1ELj100EEvPKT0_PS1_
	.globl	_Z6kernelI20flag_heads_and_tailsiLj256ELj3ELb1ELj100EEvPKT0_PS1_
	.p2align	8
	.type	_Z6kernelI20flag_heads_and_tailsiLj256ELj3ELb1ELj100EEvPKT0_PS1_,@function
_Z6kernelI20flag_heads_and_tailsiLj256ELj3ELb1ELj100EEvPKT0_PS1_: ; @_Z6kernelI20flag_heads_and_tailsiLj256ELj3ELb1ELj100EEvPKT0_PS1_
; %bb.0:
	s_load_dwordx4 s[4:7], s[0:1], 0x0
	s_mul_i32 s0, s2, 0x300
	s_mov_b32 s1, 0
	s_lshl_b64 s[8:9], s[0:1], 2
	v_lshlrev_b32_e32 v4, 2, v0
	s_waitcnt lgkmcnt(0)
	s_add_u32 s0, s4, s8
	s_addc_u32 s1, s5, s9
	global_load_dword v1, v4, s[0:1]
	global_load_dword v2, v4, s[0:1] offset:1024
	global_load_dword v3, v4, s[0:1] offset:2048
	s_movk_i32 s0, 0xff
	v_cmp_ne_u32_e32 vcc, 0, v0
	v_cmp_ne_u32_e64 s[0:1], s0, v0
	v_add_u32_e32 v5, -4, v4
	v_or_b32_e32 v6, 0x400, v4
	s_movk_i32 s4, 0x64
	s_branch .LBB87_2
.LBB87_1:                               ;   in Loop: Header=BB87_2 Depth=1
	s_or_b64 exec, exec, s[2:3]
	v_cmp_eq_u32_e64 s[2:3], v1, v2
	s_add_i32 s4, s4, -1
	s_cmp_lg_u32 s4, 0
	v_cndmask_b32_e64 v9, 0, 1, s[2:3]
	v_cmp_eq_u32_e64 s[2:3], v7, v1
	s_waitcnt lgkmcnt(0)
	s_barrier
	v_addc_co_u32_e64 v1, s[2:3], v1, v9, s[2:3]
	v_cmp_eq_u32_e64 s[2:3], v2, v3
	s_nop 1
	v_cndmask_b32_e64 v7, 0, 1, s[2:3]
	v_addc_co_u32_e64 v2, s[2:3], v2, v9, s[2:3]
	v_cmp_eq_u32_e64 s[2:3], v3, v8
	s_nop 1
	v_addc_co_u32_e64 v3, s[2:3], v3, v7, s[2:3]
	s_cbranch_scc0 .LBB87_6
.LBB87_2:                               ; =>This Inner Loop Header: Depth=1
	v_mov_b32_e32 v7, 0x7b
	s_waitcnt vmcnt(0)
	ds_write_b32 v4, v3
	s_waitcnt lgkmcnt(0)
	s_barrier
	s_and_saveexec_b64 s[2:3], vcc
	s_cbranch_execz .LBB87_4
; %bb.3:                                ;   in Loop: Header=BB87_2 Depth=1
	ds_read_b32 v7, v5
.LBB87_4:                               ;   in Loop: Header=BB87_2 Depth=1
	s_or_b64 exec, exec, s[2:3]
	v_mov_b32_e32 v8, 0xea
	ds_write_b32 v4, v1 offset:1024
	s_waitcnt lgkmcnt(0)
	s_barrier
	s_and_saveexec_b64 s[2:3], s[0:1]
	s_cbranch_execz .LBB87_1
; %bb.5:                                ;   in Loop: Header=BB87_2 Depth=1
	ds_read_b32 v8, v6 offset:4
	s_branch .LBB87_1
.LBB87_6:
	s_add_u32 s0, s6, s8
	s_addc_u32 s1, s7, s9
	v_lshlrev_b32_e32 v0, 2, v0
	global_store_dword v0, v1, s[0:1]
	global_store_dword v0, v2, s[0:1] offset:1024
	global_store_dword v0, v3, s[0:1] offset:2048
	s_endpgm
	.section	.rodata,"a",@progbits
	.p2align	6, 0x0
	.amdhsa_kernel _Z6kernelI20flag_heads_and_tailsiLj256ELj3ELb1ELj100EEvPKT0_PS1_
		.amdhsa_group_segment_fixed_size 2048
		.amdhsa_private_segment_fixed_size 0
		.amdhsa_kernarg_size 16
		.amdhsa_user_sgpr_count 2
		.amdhsa_user_sgpr_dispatch_ptr 0
		.amdhsa_user_sgpr_queue_ptr 0
		.amdhsa_user_sgpr_kernarg_segment_ptr 1
		.amdhsa_user_sgpr_dispatch_id 0
		.amdhsa_user_sgpr_kernarg_preload_length 0
		.amdhsa_user_sgpr_kernarg_preload_offset 0
		.amdhsa_user_sgpr_private_segment_size 0
		.amdhsa_uses_dynamic_stack 0
		.amdhsa_enable_private_segment 0
		.amdhsa_system_sgpr_workgroup_id_x 1
		.amdhsa_system_sgpr_workgroup_id_y 0
		.amdhsa_system_sgpr_workgroup_id_z 0
		.amdhsa_system_sgpr_workgroup_info 0
		.amdhsa_system_vgpr_workitem_id 0
		.amdhsa_next_free_vgpr 10
		.amdhsa_next_free_sgpr 10
		.amdhsa_accum_offset 12
		.amdhsa_reserve_vcc 1
		.amdhsa_float_round_mode_32 0
		.amdhsa_float_round_mode_16_64 0
		.amdhsa_float_denorm_mode_32 3
		.amdhsa_float_denorm_mode_16_64 3
		.amdhsa_dx10_clamp 1
		.amdhsa_ieee_mode 1
		.amdhsa_fp16_overflow 0
		.amdhsa_tg_split 0
		.amdhsa_exception_fp_ieee_invalid_op 0
		.amdhsa_exception_fp_denorm_src 0
		.amdhsa_exception_fp_ieee_div_zero 0
		.amdhsa_exception_fp_ieee_overflow 0
		.amdhsa_exception_fp_ieee_underflow 0
		.amdhsa_exception_fp_ieee_inexact 0
		.amdhsa_exception_int_div_zero 0
	.end_amdhsa_kernel
	.section	.text._Z6kernelI20flag_heads_and_tailsiLj256ELj3ELb1ELj100EEvPKT0_PS1_,"axG",@progbits,_Z6kernelI20flag_heads_and_tailsiLj256ELj3ELb1ELj100EEvPKT0_PS1_,comdat
.Lfunc_end87:
	.size	_Z6kernelI20flag_heads_and_tailsiLj256ELj3ELb1ELj100EEvPKT0_PS1_, .Lfunc_end87-_Z6kernelI20flag_heads_and_tailsiLj256ELj3ELb1ELj100EEvPKT0_PS1_
                                        ; -- End function
	.section	.AMDGPU.csdata,"",@progbits
; Kernel info:
; codeLenInByte = 336
; NumSgprs: 16
; NumVgprs: 10
; NumAgprs: 0
; TotalNumVgprs: 10
; ScratchSize: 0
; MemoryBound: 0
; FloatMode: 240
; IeeeMode: 1
; LDSByteSize: 2048 bytes/workgroup (compile time only)
; SGPRBlocks: 1
; VGPRBlocks: 1
; NumSGPRsForWavesPerEU: 16
; NumVGPRsForWavesPerEU: 10
; AccumOffset: 12
; Occupancy: 8
; WaveLimiterHint : 1
; COMPUTE_PGM_RSRC2:SCRATCH_EN: 0
; COMPUTE_PGM_RSRC2:USER_SGPR: 2
; COMPUTE_PGM_RSRC2:TRAP_HANDLER: 0
; COMPUTE_PGM_RSRC2:TGID_X_EN: 1
; COMPUTE_PGM_RSRC2:TGID_Y_EN: 0
; COMPUTE_PGM_RSRC2:TGID_Z_EN: 0
; COMPUTE_PGM_RSRC2:TIDIG_COMP_CNT: 0
; COMPUTE_PGM_RSRC3_GFX90A:ACCUM_OFFSET: 2
; COMPUTE_PGM_RSRC3_GFX90A:TG_SPLIT: 0
	.section	.text._Z6kernelI20flag_heads_and_tailsiLj256ELj4ELb1ELj100EEvPKT0_PS1_,"axG",@progbits,_Z6kernelI20flag_heads_and_tailsiLj256ELj4ELb1ELj100EEvPKT0_PS1_,comdat
	.protected	_Z6kernelI20flag_heads_and_tailsiLj256ELj4ELb1ELj100EEvPKT0_PS1_ ; -- Begin function _Z6kernelI20flag_heads_and_tailsiLj256ELj4ELb1ELj100EEvPKT0_PS1_
	.globl	_Z6kernelI20flag_heads_and_tailsiLj256ELj4ELb1ELj100EEvPKT0_PS1_
	.p2align	8
	.type	_Z6kernelI20flag_heads_and_tailsiLj256ELj4ELb1ELj100EEvPKT0_PS1_,@function
_Z6kernelI20flag_heads_and_tailsiLj256ELj4ELb1ELj100EEvPKT0_PS1_: ; @_Z6kernelI20flag_heads_and_tailsiLj256ELj4ELb1ELj100EEvPKT0_PS1_
; %bb.0:
	s_load_dwordx4 s[4:7], s[0:1], 0x0
	s_lshl_b32 s0, s2, 10
	s_mov_b32 s1, 0
	s_lshl_b64 s[8:9], s[0:1], 2
	v_lshlrev_b32_e32 v5, 2, v0
	s_waitcnt lgkmcnt(0)
	s_add_u32 s0, s4, s8
	s_addc_u32 s1, s5, s9
	global_load_dword v1, v5, s[0:1]
	global_load_dword v2, v5, s[0:1] offset:1024
	global_load_dword v3, v5, s[0:1] offset:2048
	;; [unrolled: 1-line block ×3, first 2 shown]
	s_movk_i32 s0, 0xff
	v_cmp_ne_u32_e32 vcc, 0, v0
	v_cmp_ne_u32_e64 s[0:1], s0, v0
	v_add_u32_e32 v6, -4, v5
	v_or_b32_e32 v7, 0x400, v5
	s_movk_i32 s4, 0x64
	s_branch .LBB88_2
.LBB88_1:                               ;   in Loop: Header=BB88_2 Depth=1
	s_or_b64 exec, exec, s[2:3]
	v_cmp_eq_u32_e64 s[2:3], v1, v2
	s_add_i32 s4, s4, -1
	s_cmp_lg_u32 s4, 0
	v_cndmask_b32_e64 v10, 0, 1, s[2:3]
	v_cmp_eq_u32_e64 s[2:3], v8, v1
	s_waitcnt lgkmcnt(0)
	s_barrier
	v_addc_co_u32_e64 v1, s[2:3], v1, v10, s[2:3]
	v_cmp_eq_u32_e64 s[2:3], v2, v3
	s_nop 1
	v_cndmask_b32_e64 v8, 0, 1, s[2:3]
	v_addc_co_u32_e64 v2, s[2:3], v2, v10, s[2:3]
	v_cmp_eq_u32_e64 s[2:3], v3, v4
	s_nop 1
	v_cndmask_b32_e64 v10, 0, 1, s[2:3]
	v_addc_co_u32_e64 v3, s[2:3], v3, v8, s[2:3]
	v_cmp_eq_u32_e64 s[2:3], v4, v9
	s_nop 1
	v_addc_co_u32_e64 v4, s[2:3], v4, v10, s[2:3]
	s_cbranch_scc0 .LBB88_6
.LBB88_2:                               ; =>This Inner Loop Header: Depth=1
	v_mov_b32_e32 v8, 0x7b
	s_waitcnt vmcnt(0)
	ds_write_b32 v5, v4
	s_waitcnt lgkmcnt(0)
	s_barrier
	s_and_saveexec_b64 s[2:3], vcc
	s_cbranch_execz .LBB88_4
; %bb.3:                                ;   in Loop: Header=BB88_2 Depth=1
	ds_read_b32 v8, v6
.LBB88_4:                               ;   in Loop: Header=BB88_2 Depth=1
	s_or_b64 exec, exec, s[2:3]
	v_mov_b32_e32 v9, 0xea
	ds_write_b32 v5, v1 offset:1024
	s_waitcnt lgkmcnt(0)
	s_barrier
	s_and_saveexec_b64 s[2:3], s[0:1]
	s_cbranch_execz .LBB88_1
; %bb.5:                                ;   in Loop: Header=BB88_2 Depth=1
	ds_read_b32 v9, v7 offset:4
	s_branch .LBB88_1
.LBB88_6:
	s_add_u32 s0, s6, s8
	s_addc_u32 s1, s7, s9
	v_lshlrev_b32_e32 v0, 2, v0
	global_store_dword v0, v1, s[0:1]
	global_store_dword v0, v2, s[0:1] offset:1024
	global_store_dword v0, v3, s[0:1] offset:2048
	;; [unrolled: 1-line block ×3, first 2 shown]
	s_endpgm
	.section	.rodata,"a",@progbits
	.p2align	6, 0x0
	.amdhsa_kernel _Z6kernelI20flag_heads_and_tailsiLj256ELj4ELb1ELj100EEvPKT0_PS1_
		.amdhsa_group_segment_fixed_size 2048
		.amdhsa_private_segment_fixed_size 0
		.amdhsa_kernarg_size 16
		.amdhsa_user_sgpr_count 2
		.amdhsa_user_sgpr_dispatch_ptr 0
		.amdhsa_user_sgpr_queue_ptr 0
		.amdhsa_user_sgpr_kernarg_segment_ptr 1
		.amdhsa_user_sgpr_dispatch_id 0
		.amdhsa_user_sgpr_kernarg_preload_length 0
		.amdhsa_user_sgpr_kernarg_preload_offset 0
		.amdhsa_user_sgpr_private_segment_size 0
		.amdhsa_uses_dynamic_stack 0
		.amdhsa_enable_private_segment 0
		.amdhsa_system_sgpr_workgroup_id_x 1
		.amdhsa_system_sgpr_workgroup_id_y 0
		.amdhsa_system_sgpr_workgroup_id_z 0
		.amdhsa_system_sgpr_workgroup_info 0
		.amdhsa_system_vgpr_workitem_id 0
		.amdhsa_next_free_vgpr 11
		.amdhsa_next_free_sgpr 10
		.amdhsa_accum_offset 12
		.amdhsa_reserve_vcc 1
		.amdhsa_float_round_mode_32 0
		.amdhsa_float_round_mode_16_64 0
		.amdhsa_float_denorm_mode_32 3
		.amdhsa_float_denorm_mode_16_64 3
		.amdhsa_dx10_clamp 1
		.amdhsa_ieee_mode 1
		.amdhsa_fp16_overflow 0
		.amdhsa_tg_split 0
		.amdhsa_exception_fp_ieee_invalid_op 0
		.amdhsa_exception_fp_denorm_src 0
		.amdhsa_exception_fp_ieee_div_zero 0
		.amdhsa_exception_fp_ieee_overflow 0
		.amdhsa_exception_fp_ieee_underflow 0
		.amdhsa_exception_fp_ieee_inexact 0
		.amdhsa_exception_int_div_zero 0
	.end_amdhsa_kernel
	.section	.text._Z6kernelI20flag_heads_and_tailsiLj256ELj4ELb1ELj100EEvPKT0_PS1_,"axG",@progbits,_Z6kernelI20flag_heads_and_tailsiLj256ELj4ELb1ELj100EEvPKT0_PS1_,comdat
.Lfunc_end88:
	.size	_Z6kernelI20flag_heads_and_tailsiLj256ELj4ELb1ELj100EEvPKT0_PS1_, .Lfunc_end88-_Z6kernelI20flag_heads_and_tailsiLj256ELj4ELb1ELj100EEvPKT0_PS1_
                                        ; -- End function
	.section	.AMDGPU.csdata,"",@progbits
; Kernel info:
; codeLenInByte = 376
; NumSgprs: 16
; NumVgprs: 11
; NumAgprs: 0
; TotalNumVgprs: 11
; ScratchSize: 0
; MemoryBound: 0
; FloatMode: 240
; IeeeMode: 1
; LDSByteSize: 2048 bytes/workgroup (compile time only)
; SGPRBlocks: 1
; VGPRBlocks: 1
; NumSGPRsForWavesPerEU: 16
; NumVGPRsForWavesPerEU: 11
; AccumOffset: 12
; Occupancy: 8
; WaveLimiterHint : 1
; COMPUTE_PGM_RSRC2:SCRATCH_EN: 0
; COMPUTE_PGM_RSRC2:USER_SGPR: 2
; COMPUTE_PGM_RSRC2:TRAP_HANDLER: 0
; COMPUTE_PGM_RSRC2:TGID_X_EN: 1
; COMPUTE_PGM_RSRC2:TGID_Y_EN: 0
; COMPUTE_PGM_RSRC2:TGID_Z_EN: 0
; COMPUTE_PGM_RSRC2:TIDIG_COMP_CNT: 0
; COMPUTE_PGM_RSRC3_GFX90A:ACCUM_OFFSET: 2
; COMPUTE_PGM_RSRC3_GFX90A:TG_SPLIT: 0
	.section	.text._Z6kernelI20flag_heads_and_tailsiLj256ELj8ELb1ELj100EEvPKT0_PS1_,"axG",@progbits,_Z6kernelI20flag_heads_and_tailsiLj256ELj8ELb1ELj100EEvPKT0_PS1_,comdat
	.protected	_Z6kernelI20flag_heads_and_tailsiLj256ELj8ELb1ELj100EEvPKT0_PS1_ ; -- Begin function _Z6kernelI20flag_heads_and_tailsiLj256ELj8ELb1ELj100EEvPKT0_PS1_
	.globl	_Z6kernelI20flag_heads_and_tailsiLj256ELj8ELb1ELj100EEvPKT0_PS1_
	.p2align	8
	.type	_Z6kernelI20flag_heads_and_tailsiLj256ELj8ELb1ELj100EEvPKT0_PS1_,@function
_Z6kernelI20flag_heads_and_tailsiLj256ELj8ELb1ELj100EEvPKT0_PS1_: ; @_Z6kernelI20flag_heads_and_tailsiLj256ELj8ELb1ELj100EEvPKT0_PS1_
; %bb.0:
	s_load_dwordx4 s[4:7], s[0:1], 0x0
	s_lshl_b32 s0, s2, 11
	s_mov_b32 s1, 0
	s_lshl_b64 s[8:9], s[0:1], 2
	v_mov_b32_e32 v3, 0
	s_waitcnt lgkmcnt(0)
	s_add_u32 s0, s4, s8
	s_addc_u32 s1, s5, s9
	v_lshlrev_b32_e32 v2, 2, v0
	v_lshl_add_u64 v[6:7], s[0:1], 0, v[2:3]
	s_movk_i32 s2, 0x1000
	v_add_co_u32_e32 v10, vcc, s2, v6
	global_load_dword v1, v2, s[0:1] offset:1024
	global_load_dword v3, v2, s[0:1] offset:2048
	;; [unrolled: 1-line block ×3, first 2 shown]
	v_addc_co_u32_e32 v11, vcc, 0, v7, vcc
	global_load_dword v5, v[10:11], off
	global_load_dword v6, v[10:11], off offset:1024
	global_load_dword v7, v[10:11], off offset:2048
	global_load_dword v9, v2, s[0:1]
	global_load_dword v8, v[10:11], off offset:3072
	s_movk_i32 s0, 0xff
	v_cmp_ne_u32_e32 vcc, 0, v0
	v_cmp_ne_u32_e64 s[0:1], s0, v0
	v_add_u32_e32 v10, -4, v2
	v_or_b32_e32 v11, 0x400, v2
	s_movk_i32 s4, 0x64
	s_branch .LBB89_2
.LBB89_1:                               ;   in Loop: Header=BB89_2 Depth=1
	s_or_b64 exec, exec, s[2:3]
	v_cmp_eq_u32_e64 s[2:3], v9, v1
	s_add_i32 s4, s4, -1
	s_cmp_lg_u32 s4, 0
	v_cndmask_b32_e64 v14, 0, 1, s[2:3]
	v_cmp_eq_u32_e64 s[2:3], v13, v9
	s_waitcnt lgkmcnt(0)
	s_barrier
	v_addc_co_u32_e64 v9, s[2:3], v9, v14, s[2:3]
	v_cmp_eq_u32_e64 s[2:3], v1, v3
	s_nop 1
	v_cndmask_b32_e64 v13, 0, 1, s[2:3]
	v_addc_co_u32_e64 v1, s[2:3], v1, v14, s[2:3]
	v_cmp_eq_u32_e64 s[2:3], v3, v4
	s_nop 1
	v_cndmask_b32_e64 v14, 0, 1, s[2:3]
	v_addc_co_u32_e64 v3, s[2:3], v3, v13, s[2:3]
	v_cmp_eq_u32_e64 s[2:3], v4, v5
	s_nop 1
	v_cndmask_b32_e64 v13, 0, 1, s[2:3]
	v_addc_co_u32_e64 v4, s[2:3], v4, v14, s[2:3]
	v_cmp_eq_u32_e64 s[2:3], v5, v6
	s_nop 1
	v_cndmask_b32_e64 v14, 0, 1, s[2:3]
	v_addc_co_u32_e64 v5, s[2:3], v5, v13, s[2:3]
	v_cmp_eq_u32_e64 s[2:3], v6, v7
	s_nop 1
	v_cndmask_b32_e64 v13, 0, 1, s[2:3]
	v_addc_co_u32_e64 v6, s[2:3], v6, v14, s[2:3]
	v_cmp_eq_u32_e64 s[2:3], v7, v8
	s_nop 1
	v_cndmask_b32_e64 v14, 0, 1, s[2:3]
	v_addc_co_u32_e64 v7, s[2:3], v7, v13, s[2:3]
	v_cmp_eq_u32_e64 s[2:3], v8, v12
	s_nop 1
	v_addc_co_u32_e64 v8, s[2:3], v8, v14, s[2:3]
	s_cbranch_scc0 .LBB89_6
.LBB89_2:                               ; =>This Inner Loop Header: Depth=1
	v_mov_b32_e32 v13, 0x7b
	s_waitcnt vmcnt(0)
	ds_write_b32 v2, v8
	s_waitcnt lgkmcnt(0)
	s_barrier
	s_and_saveexec_b64 s[2:3], vcc
	s_cbranch_execz .LBB89_4
; %bb.3:                                ;   in Loop: Header=BB89_2 Depth=1
	ds_read_b32 v13, v10
.LBB89_4:                               ;   in Loop: Header=BB89_2 Depth=1
	s_or_b64 exec, exec, s[2:3]
	v_mov_b32_e32 v12, 0xea
	ds_write_b32 v2, v9 offset:1024
	s_waitcnt lgkmcnt(0)
	s_barrier
	s_and_saveexec_b64 s[2:3], s[0:1]
	s_cbranch_execz .LBB89_1
; %bb.5:                                ;   in Loop: Header=BB89_2 Depth=1
	ds_read_b32 v12, v11 offset:4
	s_branch .LBB89_1
.LBB89_6:
	s_add_u32 s0, s6, s8
	s_addc_u32 s1, s7, s9
	v_lshlrev_b32_e32 v10, 2, v0
	v_mov_b32_e32 v11, 0
	v_lshl_add_u64 v[12:13], s[0:1], 0, v[10:11]
	v_add_co_u32_e32 v0, vcc, 0x1000, v12
	global_store_dword v10, v9, s[0:1]
	global_store_dword v10, v1, s[0:1] offset:1024
	global_store_dword v10, v3, s[0:1] offset:2048
	;; [unrolled: 1-line block ×3, first 2 shown]
	v_addc_co_u32_e32 v1, vcc, 0, v13, vcc
	global_store_dword v[0:1], v5, off
	global_store_dword v[0:1], v6, off offset:1024
	global_store_dword v[0:1], v7, off offset:2048
	;; [unrolled: 1-line block ×3, first 2 shown]
	s_endpgm
	.section	.rodata,"a",@progbits
	.p2align	6, 0x0
	.amdhsa_kernel _Z6kernelI20flag_heads_and_tailsiLj256ELj8ELb1ELj100EEvPKT0_PS1_
		.amdhsa_group_segment_fixed_size 2048
		.amdhsa_private_segment_fixed_size 0
		.amdhsa_kernarg_size 16
		.amdhsa_user_sgpr_count 2
		.amdhsa_user_sgpr_dispatch_ptr 0
		.amdhsa_user_sgpr_queue_ptr 0
		.amdhsa_user_sgpr_kernarg_segment_ptr 1
		.amdhsa_user_sgpr_dispatch_id 0
		.amdhsa_user_sgpr_kernarg_preload_length 0
		.amdhsa_user_sgpr_kernarg_preload_offset 0
		.amdhsa_user_sgpr_private_segment_size 0
		.amdhsa_uses_dynamic_stack 0
		.amdhsa_enable_private_segment 0
		.amdhsa_system_sgpr_workgroup_id_x 1
		.amdhsa_system_sgpr_workgroup_id_y 0
		.amdhsa_system_sgpr_workgroup_id_z 0
		.amdhsa_system_sgpr_workgroup_info 0
		.amdhsa_system_vgpr_workitem_id 0
		.amdhsa_next_free_vgpr 15
		.amdhsa_next_free_sgpr 10
		.amdhsa_accum_offset 16
		.amdhsa_reserve_vcc 1
		.amdhsa_float_round_mode_32 0
		.amdhsa_float_round_mode_16_64 0
		.amdhsa_float_denorm_mode_32 3
		.amdhsa_float_denorm_mode_16_64 3
		.amdhsa_dx10_clamp 1
		.amdhsa_ieee_mode 1
		.amdhsa_fp16_overflow 0
		.amdhsa_tg_split 0
		.amdhsa_exception_fp_ieee_invalid_op 0
		.amdhsa_exception_fp_denorm_src 0
		.amdhsa_exception_fp_ieee_div_zero 0
		.amdhsa_exception_fp_ieee_overflow 0
		.amdhsa_exception_fp_ieee_underflow 0
		.amdhsa_exception_fp_ieee_inexact 0
		.amdhsa_exception_int_div_zero 0
	.end_amdhsa_kernel
	.section	.text._Z6kernelI20flag_heads_and_tailsiLj256ELj8ELb1ELj100EEvPKT0_PS1_,"axG",@progbits,_Z6kernelI20flag_heads_and_tailsiLj256ELj8ELb1ELj100EEvPKT0_PS1_,comdat
.Lfunc_end89:
	.size	_Z6kernelI20flag_heads_and_tailsiLj256ELj8ELb1ELj100EEvPKT0_PS1_, .Lfunc_end89-_Z6kernelI20flag_heads_and_tailsiLj256ELj8ELb1ELj100EEvPKT0_PS1_
                                        ; -- End function
	.section	.AMDGPU.csdata,"",@progbits
; Kernel info:
; codeLenInByte = 600
; NumSgprs: 16
; NumVgprs: 15
; NumAgprs: 0
; TotalNumVgprs: 15
; ScratchSize: 0
; MemoryBound: 0
; FloatMode: 240
; IeeeMode: 1
; LDSByteSize: 2048 bytes/workgroup (compile time only)
; SGPRBlocks: 1
; VGPRBlocks: 1
; NumSGPRsForWavesPerEU: 16
; NumVGPRsForWavesPerEU: 15
; AccumOffset: 16
; Occupancy: 8
; WaveLimiterHint : 1
; COMPUTE_PGM_RSRC2:SCRATCH_EN: 0
; COMPUTE_PGM_RSRC2:USER_SGPR: 2
; COMPUTE_PGM_RSRC2:TRAP_HANDLER: 0
; COMPUTE_PGM_RSRC2:TGID_X_EN: 1
; COMPUTE_PGM_RSRC2:TGID_Y_EN: 0
; COMPUTE_PGM_RSRC2:TGID_Z_EN: 0
; COMPUTE_PGM_RSRC2:TIDIG_COMP_CNT: 0
; COMPUTE_PGM_RSRC3_GFX90A:ACCUM_OFFSET: 3
; COMPUTE_PGM_RSRC3_GFX90A:TG_SPLIT: 0
	.section	.text._Z6kernelI20flag_heads_and_tailsaLj256ELj1ELb0ELj100EEvPKT0_PS1_,"axG",@progbits,_Z6kernelI20flag_heads_and_tailsaLj256ELj1ELb0ELj100EEvPKT0_PS1_,comdat
	.protected	_Z6kernelI20flag_heads_and_tailsaLj256ELj1ELb0ELj100EEvPKT0_PS1_ ; -- Begin function _Z6kernelI20flag_heads_and_tailsaLj256ELj1ELb0ELj100EEvPKT0_PS1_
	.globl	_Z6kernelI20flag_heads_and_tailsaLj256ELj1ELb0ELj100EEvPKT0_PS1_
	.p2align	8
	.type	_Z6kernelI20flag_heads_and_tailsaLj256ELj1ELb0ELj100EEvPKT0_PS1_,@function
_Z6kernelI20flag_heads_and_tailsaLj256ELj1ELb0ELj100EEvPKT0_PS1_: ; @_Z6kernelI20flag_heads_and_tailsaLj256ELj1ELb0ELj100EEvPKT0_PS1_
; %bb.0:
	s_load_dwordx4 s[4:7], s[0:1], 0x0
	s_lshl_b32 s8, s2, 8
	v_mov_b32_e32 v1, 0
	v_cmp_ne_u32_e32 vcc, 0, v0
	v_add_u32_e32 v3, -1, v0
	s_waitcnt lgkmcnt(0)
	s_add_u32 s0, s4, s8
	s_addc_u32 s1, s5, 0
	global_load_ubyte v2, v0, s[0:1]
	s_movk_i32 s0, 0xff
	v_cmp_ne_u32_e64 s[0:1], s0, v0
	s_movk_i32 s4, 0x64
	s_branch .LBB90_2
.LBB90_1:                               ;   in Loop: Header=BB90_2 Depth=1
	s_or_b64 exec, exec, s[2:3]
	v_add_u16_e32 v2, v5, v2
	s_add_i32 s4, s4, -1
	v_add_u16_e32 v2, v2, v4
	s_cmp_lg_u32 s4, 0
	s_barrier
	s_cbranch_scc0 .LBB90_6
.LBB90_2:                               ; =>This Inner Loop Header: Depth=1
	v_mov_b32_e32 v4, 1
	v_mov_b32_e32 v5, 1
	s_waitcnt vmcnt(0)
	ds_write_b8 v0, v2
	s_waitcnt lgkmcnt(0)
	s_barrier
	s_and_saveexec_b64 s[2:3], vcc
	s_cbranch_execz .LBB90_4
; %bb.3:                                ;   in Loop: Header=BB90_2 Depth=1
	ds_read_u8 v5, v3
	s_waitcnt lgkmcnt(0)
	v_cmp_eq_u16_sdwa s[10:11], v5, v2 src0_sel:DWORD src1_sel:BYTE_0
	s_nop 1
	v_cndmask_b32_e64 v5, 0, 1, s[10:11]
.LBB90_4:                               ;   in Loop: Header=BB90_2 Depth=1
	s_or_b64 exec, exec, s[2:3]
	ds_write_b8 v0, v2 offset:256
	s_waitcnt lgkmcnt(0)
	s_barrier
	s_and_saveexec_b64 s[2:3], s[0:1]
	s_cbranch_execz .LBB90_1
; %bb.5:                                ;   in Loop: Header=BB90_2 Depth=1
	ds_read_u8 v4, v0 offset:257
	s_waitcnt lgkmcnt(0)
	v_cmp_eq_u16_sdwa s[10:11], v4, v2 src0_sel:DWORD src1_sel:BYTE_0
	s_nop 1
	v_cndmask_b32_e64 v4, 0, 1, s[10:11]
	s_branch .LBB90_1
.LBB90_6:
	s_add_u32 s0, s6, s8
	s_addc_u32 s1, s7, 0
	v_lshl_add_u64 v[0:1], s[0:1], 0, v[0:1]
	global_store_byte v[0:1], v2, off
	s_endpgm
	.section	.rodata,"a",@progbits
	.p2align	6, 0x0
	.amdhsa_kernel _Z6kernelI20flag_heads_and_tailsaLj256ELj1ELb0ELj100EEvPKT0_PS1_
		.amdhsa_group_segment_fixed_size 512
		.amdhsa_private_segment_fixed_size 0
		.amdhsa_kernarg_size 16
		.amdhsa_user_sgpr_count 2
		.amdhsa_user_sgpr_dispatch_ptr 0
		.amdhsa_user_sgpr_queue_ptr 0
		.amdhsa_user_sgpr_kernarg_segment_ptr 1
		.amdhsa_user_sgpr_dispatch_id 0
		.amdhsa_user_sgpr_kernarg_preload_length 0
		.amdhsa_user_sgpr_kernarg_preload_offset 0
		.amdhsa_user_sgpr_private_segment_size 0
		.amdhsa_uses_dynamic_stack 0
		.amdhsa_enable_private_segment 0
		.amdhsa_system_sgpr_workgroup_id_x 1
		.amdhsa_system_sgpr_workgroup_id_y 0
		.amdhsa_system_sgpr_workgroup_id_z 0
		.amdhsa_system_sgpr_workgroup_info 0
		.amdhsa_system_vgpr_workitem_id 0
		.amdhsa_next_free_vgpr 6
		.amdhsa_next_free_sgpr 12
		.amdhsa_accum_offset 8
		.amdhsa_reserve_vcc 1
		.amdhsa_float_round_mode_32 0
		.amdhsa_float_round_mode_16_64 0
		.amdhsa_float_denorm_mode_32 3
		.amdhsa_float_denorm_mode_16_64 3
		.amdhsa_dx10_clamp 1
		.amdhsa_ieee_mode 1
		.amdhsa_fp16_overflow 0
		.amdhsa_tg_split 0
		.amdhsa_exception_fp_ieee_invalid_op 0
		.amdhsa_exception_fp_denorm_src 0
		.amdhsa_exception_fp_ieee_div_zero 0
		.amdhsa_exception_fp_ieee_overflow 0
		.amdhsa_exception_fp_ieee_underflow 0
		.amdhsa_exception_fp_ieee_inexact 0
		.amdhsa_exception_int_div_zero 0
	.end_amdhsa_kernel
	.section	.text._Z6kernelI20flag_heads_and_tailsaLj256ELj1ELb0ELj100EEvPKT0_PS1_,"axG",@progbits,_Z6kernelI20flag_heads_and_tailsaLj256ELj1ELb0ELj100EEvPKT0_PS1_,comdat
.Lfunc_end90:
	.size	_Z6kernelI20flag_heads_and_tailsaLj256ELj1ELb0ELj100EEvPKT0_PS1_, .Lfunc_end90-_Z6kernelI20flag_heads_and_tailsaLj256ELj1ELb0ELj100EEvPKT0_PS1_
                                        ; -- End function
	.section	.AMDGPU.csdata,"",@progbits
; Kernel info:
; codeLenInByte = 252
; NumSgprs: 18
; NumVgprs: 6
; NumAgprs: 0
; TotalNumVgprs: 6
; ScratchSize: 0
; MemoryBound: 0
; FloatMode: 240
; IeeeMode: 1
; LDSByteSize: 512 bytes/workgroup (compile time only)
; SGPRBlocks: 2
; VGPRBlocks: 0
; NumSGPRsForWavesPerEU: 18
; NumVGPRsForWavesPerEU: 6
; AccumOffset: 8
; Occupancy: 8
; WaveLimiterHint : 0
; COMPUTE_PGM_RSRC2:SCRATCH_EN: 0
; COMPUTE_PGM_RSRC2:USER_SGPR: 2
; COMPUTE_PGM_RSRC2:TRAP_HANDLER: 0
; COMPUTE_PGM_RSRC2:TGID_X_EN: 1
; COMPUTE_PGM_RSRC2:TGID_Y_EN: 0
; COMPUTE_PGM_RSRC2:TGID_Z_EN: 0
; COMPUTE_PGM_RSRC2:TIDIG_COMP_CNT: 0
; COMPUTE_PGM_RSRC3_GFX90A:ACCUM_OFFSET: 1
; COMPUTE_PGM_RSRC3_GFX90A:TG_SPLIT: 0
	.section	.text._Z6kernelI20flag_heads_and_tailsaLj256ELj2ELb0ELj100EEvPKT0_PS1_,"axG",@progbits,_Z6kernelI20flag_heads_and_tailsaLj256ELj2ELb0ELj100EEvPKT0_PS1_,comdat
	.protected	_Z6kernelI20flag_heads_and_tailsaLj256ELj2ELb0ELj100EEvPKT0_PS1_ ; -- Begin function _Z6kernelI20flag_heads_and_tailsaLj256ELj2ELb0ELj100EEvPKT0_PS1_
	.globl	_Z6kernelI20flag_heads_and_tailsaLj256ELj2ELb0ELj100EEvPKT0_PS1_
	.p2align	8
	.type	_Z6kernelI20flag_heads_and_tailsaLj256ELj2ELb0ELj100EEvPKT0_PS1_,@function
_Z6kernelI20flag_heads_and_tailsaLj256ELj2ELb0ELj100EEvPKT0_PS1_: ; @_Z6kernelI20flag_heads_and_tailsaLj256ELj2ELb0ELj100EEvPKT0_PS1_
; %bb.0:
	s_load_dwordx4 s[4:7], s[0:1], 0x0
	s_lshl_b32 s8, s2, 9
	v_mov_b32_e32 v1, 0
	v_cmp_ne_u32_e32 vcc, 0, v0
	v_add_u32_e32 v2, -1, v0
	s_waitcnt lgkmcnt(0)
	s_add_u32 s0, s4, s8
	s_addc_u32 s1, s5, 0
	global_load_ubyte v3, v0, s[0:1] offset:256
	global_load_ubyte v4, v0, s[0:1]
	s_movk_i32 s0, 0xff
	v_cmp_ne_u32_e64 s[0:1], s0, v0
	s_movk_i32 s9, 0x64
	s_waitcnt vmcnt(1)
	v_lshlrev_b16_e32 v3, 8, v3
	s_waitcnt vmcnt(0)
	v_or_b32_e32 v3, v4, v3
	v_and_b32_e32 v3, 0xffff, v3
	s_branch .LBB91_2
.LBB91_1:                               ;   in Loop: Header=BB91_2 Depth=1
	s_or_b64 exec, exec, s[4:5]
	v_add_u16_e32 v3, v5, v3
	v_add_u16_e32 v6, v3, v7
	v_add_u16_sdwa v3, v5, v4 dst_sel:DWORD dst_unused:UNUSED_PAD src0_sel:BYTE_1 src1_sel:DWORD
	v_add_u16_sdwa v4, v3, v7 dst_sel:DWORD dst_unused:UNUSED_PAD src0_sel:DWORD src1_sel:BYTE_1
	v_lshlrev_b16_e32 v3, 8, v4
	v_or_b32_sdwa v3, v6, v3 dst_sel:DWORD dst_unused:UNUSED_PAD src0_sel:BYTE_0 src1_sel:DWORD
	s_add_i32 s9, s9, -1
	v_and_b32_e32 v3, 0xffff, v3
	s_cmp_lg_u32 s9, 0
	s_barrier
	s_cbranch_scc0 .LBB91_6
.LBB91_2:                               ; =>This Inner Loop Header: Depth=1
	v_lshrrev_b16_e32 v4, 8, v3
	v_cmp_eq_u16_sdwa s[2:3], v3, v4 src0_sel:BYTE_0 src1_sel:DWORD
	ds_write_b8 v0, v4
	s_waitcnt lgkmcnt(0)
	v_cndmask_b32_e64 v6, 0, 1, s[2:3]
	v_lshlrev_b16_e32 v5, 8, v6
	v_or_b32_e32 v5, 1, v5
	v_and_b32_e32 v5, 0xffff, v5
	s_barrier
	s_and_saveexec_b64 s[2:3], vcc
	s_cbranch_execz .LBB91_4
; %bb.3:                                ;   in Loop: Header=BB91_2 Depth=1
	ds_read_u8 v7, v2
	v_and_b32_e32 v5, 0x100, v5
	s_waitcnt lgkmcnt(0)
	v_cmp_eq_u16_sdwa s[4:5], v7, v3 src0_sel:DWORD src1_sel:BYTE_0
	s_nop 1
	v_cndmask_b32_e64 v7, 0, 1, s[4:5]
	v_or_b32_e32 v5, v7, v5
	v_and_b32_e32 v5, 0xffff, v5
.LBB91_4:                               ;   in Loop: Header=BB91_2 Depth=1
	s_or_b64 exec, exec, s[2:3]
	v_or_b32_e32 v6, 0x100, v6
	v_and_b32_e32 v7, 0xffff, v6
	ds_write_b8 v0, v3 offset:256
	s_waitcnt lgkmcnt(0)
	s_barrier
	s_and_saveexec_b64 s[4:5], s[0:1]
	s_cbranch_execz .LBB91_1
; %bb.5:                                ;   in Loop: Header=BB91_2 Depth=1
	ds_read_u8 v6, v0 offset:257
	s_waitcnt lgkmcnt(0)
	v_cmp_eq_u16_e64 s[2:3], v6, v4
	s_nop 1
	v_cndmask_b32_e64 v6, 0, 1, s[2:3]
	v_lshlrev_b16_e32 v6, 8, v6
	v_or_b32_sdwa v6, v7, v6 dst_sel:DWORD dst_unused:UNUSED_PAD src0_sel:BYTE_0 src1_sel:DWORD
	v_and_b32_e32 v7, 0xffff, v6
	s_branch .LBB91_1
.LBB91_6:
	s_add_u32 s0, s6, s8
	s_addc_u32 s1, s7, 0
	v_lshl_add_u64 v[0:1], s[0:1], 0, v[0:1]
	global_store_byte v[0:1], v6, off
	global_store_byte v[0:1], v4, off offset:256
	s_endpgm
	.section	.rodata,"a",@progbits
	.p2align	6, 0x0
	.amdhsa_kernel _Z6kernelI20flag_heads_and_tailsaLj256ELj2ELb0ELj100EEvPKT0_PS1_
		.amdhsa_group_segment_fixed_size 512
		.amdhsa_private_segment_fixed_size 0
		.amdhsa_kernarg_size 16
		.amdhsa_user_sgpr_count 2
		.amdhsa_user_sgpr_dispatch_ptr 0
		.amdhsa_user_sgpr_queue_ptr 0
		.amdhsa_user_sgpr_kernarg_segment_ptr 1
		.amdhsa_user_sgpr_dispatch_id 0
		.amdhsa_user_sgpr_kernarg_preload_length 0
		.amdhsa_user_sgpr_kernarg_preload_offset 0
		.amdhsa_user_sgpr_private_segment_size 0
		.amdhsa_uses_dynamic_stack 0
		.amdhsa_enable_private_segment 0
		.amdhsa_system_sgpr_workgroup_id_x 1
		.amdhsa_system_sgpr_workgroup_id_y 0
		.amdhsa_system_sgpr_workgroup_id_z 0
		.amdhsa_system_sgpr_workgroup_info 0
		.amdhsa_system_vgpr_workitem_id 0
		.amdhsa_next_free_vgpr 8
		.amdhsa_next_free_sgpr 10
		.amdhsa_accum_offset 8
		.amdhsa_reserve_vcc 1
		.amdhsa_float_round_mode_32 0
		.amdhsa_float_round_mode_16_64 0
		.amdhsa_float_denorm_mode_32 3
		.amdhsa_float_denorm_mode_16_64 3
		.amdhsa_dx10_clamp 1
		.amdhsa_ieee_mode 1
		.amdhsa_fp16_overflow 0
		.amdhsa_tg_split 0
		.amdhsa_exception_fp_ieee_invalid_op 0
		.amdhsa_exception_fp_denorm_src 0
		.amdhsa_exception_fp_ieee_div_zero 0
		.amdhsa_exception_fp_ieee_overflow 0
		.amdhsa_exception_fp_ieee_underflow 0
		.amdhsa_exception_fp_ieee_inexact 0
		.amdhsa_exception_int_div_zero 0
	.end_amdhsa_kernel
	.section	.text._Z6kernelI20flag_heads_and_tailsaLj256ELj2ELb0ELj100EEvPKT0_PS1_,"axG",@progbits,_Z6kernelI20flag_heads_and_tailsaLj256ELj2ELb0ELj100EEvPKT0_PS1_,comdat
.Lfunc_end91:
	.size	_Z6kernelI20flag_heads_and_tailsaLj256ELj2ELb0ELj100EEvPKT0_PS1_, .Lfunc_end91-_Z6kernelI20flag_heads_and_tailsaLj256ELj2ELb0ELj100EEvPKT0_PS1_
                                        ; -- End function
	.section	.AMDGPU.csdata,"",@progbits
; Kernel info:
; codeLenInByte = 408
; NumSgprs: 16
; NumVgprs: 8
; NumAgprs: 0
; TotalNumVgprs: 8
; ScratchSize: 0
; MemoryBound: 0
; FloatMode: 240
; IeeeMode: 1
; LDSByteSize: 512 bytes/workgroup (compile time only)
; SGPRBlocks: 1
; VGPRBlocks: 0
; NumSGPRsForWavesPerEU: 16
; NumVGPRsForWavesPerEU: 8
; AccumOffset: 8
; Occupancy: 8
; WaveLimiterHint : 1
; COMPUTE_PGM_RSRC2:SCRATCH_EN: 0
; COMPUTE_PGM_RSRC2:USER_SGPR: 2
; COMPUTE_PGM_RSRC2:TRAP_HANDLER: 0
; COMPUTE_PGM_RSRC2:TGID_X_EN: 1
; COMPUTE_PGM_RSRC2:TGID_Y_EN: 0
; COMPUTE_PGM_RSRC2:TGID_Z_EN: 0
; COMPUTE_PGM_RSRC2:TIDIG_COMP_CNT: 0
; COMPUTE_PGM_RSRC3_GFX90A:ACCUM_OFFSET: 1
; COMPUTE_PGM_RSRC3_GFX90A:TG_SPLIT: 0
	.section	.text._Z6kernelI20flag_heads_and_tailsaLj256ELj3ELb0ELj100EEvPKT0_PS1_,"axG",@progbits,_Z6kernelI20flag_heads_and_tailsaLj256ELj3ELb0ELj100EEvPKT0_PS1_,comdat
	.protected	_Z6kernelI20flag_heads_and_tailsaLj256ELj3ELb0ELj100EEvPKT0_PS1_ ; -- Begin function _Z6kernelI20flag_heads_and_tailsaLj256ELj3ELb0ELj100EEvPKT0_PS1_
	.globl	_Z6kernelI20flag_heads_and_tailsaLj256ELj3ELb0ELj100EEvPKT0_PS1_
	.p2align	8
	.type	_Z6kernelI20flag_heads_and_tailsaLj256ELj3ELb0ELj100EEvPKT0_PS1_,@function
_Z6kernelI20flag_heads_and_tailsaLj256ELj3ELb0ELj100EEvPKT0_PS1_: ; @_Z6kernelI20flag_heads_and_tailsaLj256ELj3ELb0ELj100EEvPKT0_PS1_
; %bb.0:
	s_load_dwordx4 s[4:7], s[0:1], 0x0
	s_mul_i32 s8, s2, 0x300
	v_mov_b32_e32 v1, 0
	v_cmp_ne_u32_e32 vcc, 0, v0
	v_add_u32_e32 v2, -1, v0
	s_waitcnt lgkmcnt(0)
	s_add_u32 s0, s4, s8
	s_addc_u32 s1, s5, 0
	global_load_ubyte v3, v0, s[0:1] offset:256
	global_load_ubyte v4, v0, s[0:1]
	global_load_ubyte v5, v0, s[0:1] offset:512
	s_movk_i32 s0, 0xff
	s_movk_i32 s4, 0x64
	s_mov_b32 s5, 0x10000
	v_cmp_ne_u32_e64 s[0:1], s0, v0
	s_waitcnt vmcnt(2)
	v_lshlrev_b16_e32 v3, 8, v3
	s_waitcnt vmcnt(1)
	v_or_b32_e32 v3, v4, v3
	v_and_b32_e32 v3, 0xffff, v3
	s_waitcnt vmcnt(0)
	v_lshl_or_b32 v4, v5, 16, v3
	v_mov_b32_e32 v3, 8
	s_branch .LBB92_2
.LBB92_1:                               ;   in Loop: Header=BB92_2 Depth=1
	s_or_b64 exec, exec, s[2:3]
	v_add_u16_e32 v4, v7, v4
	v_add_u16_e32 v8, v4, v9
	v_lshrrev_b32_e32 v4, 8, v7
	v_add_u16_e32 v4, v4, v6
	v_lshrrev_b32_e32 v6, 8, v9
	v_add_u16_e32 v6, v4, v6
	v_add_u16_sdwa v4, v7, v5 dst_sel:DWORD dst_unused:UNUSED_PAD src0_sel:WORD_1 src1_sel:DWORD
	v_add_u16_sdwa v5, v4, v9 dst_sel:DWORD dst_unused:UNUSED_PAD src0_sel:DWORD src1_sel:WORD_1
	v_lshlrev_b16_e32 v4, 8, v6
	v_and_b32_e32 v7, 0xff, v5
	v_or_b32_sdwa v4, v8, v4 dst_sel:DWORD dst_unused:UNUSED_PAD src0_sel:BYTE_0 src1_sel:DWORD
	v_lshlrev_b32_e32 v7, 16, v7
	s_add_i32 s4, s4, -1
	v_or_b32_sdwa v4, v4, v7 dst_sel:DWORD dst_unused:UNUSED_PAD src0_sel:WORD_0 src1_sel:DWORD
	s_cmp_lg_u32 s4, 0
	s_barrier
	s_cbranch_scc0 .LBB92_6
.LBB92_2:                               ; =>This Inner Loop Header: Depth=1
	v_lshrrev_b32_e32 v5, 16, v4
	v_lshrrev_b32_e32 v6, 8, v4
	v_cmp_eq_u16_sdwa s[2:3], v6, v5 src0_sel:BYTE_0 src1_sel:BYTE_0
	ds_write_b8 v0, v5
	s_waitcnt lgkmcnt(0)
	v_cndmask_b32_e64 v8, 0, 1, s[2:3]
	v_cmp_eq_u16_sdwa s[2:3], v4, v6 src0_sel:BYTE_0 src1_sel:BYTE_0
	s_barrier
	s_nop 0
	v_cndmask_b32_e64 v9, 0, 1, s[2:3]
	v_lshlrev_b16_e32 v7, 8, v9
	v_or_b32_e32 v7, 1, v7
	v_and_b32_e32 v7, 0xffff, v7
	v_lshl_or_b32 v7, v8, 16, v7
	s_and_saveexec_b64 s[2:3], vcc
	s_cbranch_execz .LBB92_4
; %bb.3:                                ;   in Loop: Header=BB92_2 Depth=1
	ds_read_u8 v10, v2
	v_lshrrev_b32_sdwa v11, v3, v7 dst_sel:BYTE_1 dst_unused:UNUSED_PAD src0_sel:DWORD src1_sel:DWORD
	s_waitcnt lgkmcnt(0)
	v_cmp_eq_u16_sdwa s[10:11], v10, v4 src0_sel:DWORD src1_sel:BYTE_0
	s_nop 1
	v_cndmask_b32_e64 v10, 0, 1, s[10:11]
	v_or_b32_e32 v10, v10, v11
	v_and_b32_e32 v10, 0xffff, v10
	v_and_or_b32 v7, v7, s5, v10
.LBB92_4:                               ;   in Loop: Header=BB92_2 Depth=1
	s_or_b64 exec, exec, s[2:3]
	v_lshlrev_b16_e32 v8, 8, v8
	v_or_b32_e32 v8, v9, v8
	v_or_b32_sdwa v9, v8, s5 dst_sel:DWORD dst_unused:UNUSED_PAD src0_sel:WORD_0 src1_sel:DWORD
	ds_write_b8 v0, v4 offset:256
	s_waitcnt lgkmcnt(0)
	s_barrier
	s_and_saveexec_b64 s[2:3], s[0:1]
	s_cbranch_execz .LBB92_1
; %bb.5:                                ;   in Loop: Header=BB92_2 Depth=1
	ds_read_u8 v8, v0 offset:257
	v_lshrrev_b32_sdwa v10, v3, v9 dst_sel:BYTE_1 dst_unused:UNUSED_PAD src0_sel:DWORD src1_sel:DWORD
	s_waitcnt lgkmcnt(0)
	v_cmp_eq_u16_sdwa s[10:11], v5, v8 src0_sel:BYTE_0 src1_sel:DWORD
	v_or_b32_sdwa v9, v9, v10 dst_sel:DWORD dst_unused:UNUSED_PAD src0_sel:BYTE_0 src1_sel:DWORD
	v_and_b32_e32 v9, 0xffff, v9
	v_cndmask_b32_e64 v8, 0, 1, s[10:11]
	v_lshl_or_b32 v9, v8, 16, v9
	s_branch .LBB92_1
.LBB92_6:
	s_add_u32 s0, s6, s8
	s_addc_u32 s1, s7, 0
	v_lshl_add_u64 v[0:1], s[0:1], 0, v[0:1]
	global_store_byte v[0:1], v8, off
	global_store_byte v[0:1], v6, off offset:256
	global_store_byte v[0:1], v5, off offset:512
	s_endpgm
	.section	.rodata,"a",@progbits
	.p2align	6, 0x0
	.amdhsa_kernel _Z6kernelI20flag_heads_and_tailsaLj256ELj3ELb0ELj100EEvPKT0_PS1_
		.amdhsa_group_segment_fixed_size 512
		.amdhsa_private_segment_fixed_size 0
		.amdhsa_kernarg_size 16
		.amdhsa_user_sgpr_count 2
		.amdhsa_user_sgpr_dispatch_ptr 0
		.amdhsa_user_sgpr_queue_ptr 0
		.amdhsa_user_sgpr_kernarg_segment_ptr 1
		.amdhsa_user_sgpr_dispatch_id 0
		.amdhsa_user_sgpr_kernarg_preload_length 0
		.amdhsa_user_sgpr_kernarg_preload_offset 0
		.amdhsa_user_sgpr_private_segment_size 0
		.amdhsa_uses_dynamic_stack 0
		.amdhsa_enable_private_segment 0
		.amdhsa_system_sgpr_workgroup_id_x 1
		.amdhsa_system_sgpr_workgroup_id_y 0
		.amdhsa_system_sgpr_workgroup_id_z 0
		.amdhsa_system_sgpr_workgroup_info 0
		.amdhsa_system_vgpr_workitem_id 0
		.amdhsa_next_free_vgpr 12
		.amdhsa_next_free_sgpr 12
		.amdhsa_accum_offset 12
		.amdhsa_reserve_vcc 1
		.amdhsa_float_round_mode_32 0
		.amdhsa_float_round_mode_16_64 0
		.amdhsa_float_denorm_mode_32 3
		.amdhsa_float_denorm_mode_16_64 3
		.amdhsa_dx10_clamp 1
		.amdhsa_ieee_mode 1
		.amdhsa_fp16_overflow 0
		.amdhsa_tg_split 0
		.amdhsa_exception_fp_ieee_invalid_op 0
		.amdhsa_exception_fp_denorm_src 0
		.amdhsa_exception_fp_ieee_div_zero 0
		.amdhsa_exception_fp_ieee_overflow 0
		.amdhsa_exception_fp_ieee_underflow 0
		.amdhsa_exception_fp_ieee_inexact 0
		.amdhsa_exception_int_div_zero 0
	.end_amdhsa_kernel
	.section	.text._Z6kernelI20flag_heads_and_tailsaLj256ELj3ELb0ELj100EEvPKT0_PS1_,"axG",@progbits,_Z6kernelI20flag_heads_and_tailsaLj256ELj3ELb0ELj100EEvPKT0_PS1_,comdat
.Lfunc_end92:
	.size	_Z6kernelI20flag_heads_and_tailsaLj256ELj3ELb0ELj100EEvPKT0_PS1_, .Lfunc_end92-_Z6kernelI20flag_heads_and_tailsaLj256ELj3ELb0ELj100EEvPKT0_PS1_
                                        ; -- End function
	.section	.AMDGPU.csdata,"",@progbits
; Kernel info:
; codeLenInByte = 528
; NumSgprs: 18
; NumVgprs: 12
; NumAgprs: 0
; TotalNumVgprs: 12
; ScratchSize: 0
; MemoryBound: 0
; FloatMode: 240
; IeeeMode: 1
; LDSByteSize: 512 bytes/workgroup (compile time only)
; SGPRBlocks: 2
; VGPRBlocks: 1
; NumSGPRsForWavesPerEU: 18
; NumVGPRsForWavesPerEU: 12
; AccumOffset: 12
; Occupancy: 8
; WaveLimiterHint : 1
; COMPUTE_PGM_RSRC2:SCRATCH_EN: 0
; COMPUTE_PGM_RSRC2:USER_SGPR: 2
; COMPUTE_PGM_RSRC2:TRAP_HANDLER: 0
; COMPUTE_PGM_RSRC2:TGID_X_EN: 1
; COMPUTE_PGM_RSRC2:TGID_Y_EN: 0
; COMPUTE_PGM_RSRC2:TGID_Z_EN: 0
; COMPUTE_PGM_RSRC2:TIDIG_COMP_CNT: 0
; COMPUTE_PGM_RSRC3_GFX90A:ACCUM_OFFSET: 2
; COMPUTE_PGM_RSRC3_GFX90A:TG_SPLIT: 0
	.section	.text._Z6kernelI20flag_heads_and_tailsaLj256ELj4ELb0ELj100EEvPKT0_PS1_,"axG",@progbits,_Z6kernelI20flag_heads_and_tailsaLj256ELj4ELb0ELj100EEvPKT0_PS1_,comdat
	.protected	_Z6kernelI20flag_heads_and_tailsaLj256ELj4ELb0ELj100EEvPKT0_PS1_ ; -- Begin function _Z6kernelI20flag_heads_and_tailsaLj256ELj4ELb0ELj100EEvPKT0_PS1_
	.globl	_Z6kernelI20flag_heads_and_tailsaLj256ELj4ELb0ELj100EEvPKT0_PS1_
	.p2align	8
	.type	_Z6kernelI20flag_heads_and_tailsaLj256ELj4ELb0ELj100EEvPKT0_PS1_,@function
_Z6kernelI20flag_heads_and_tailsaLj256ELj4ELb0ELj100EEvPKT0_PS1_: ; @_Z6kernelI20flag_heads_and_tailsaLj256ELj4ELb0ELj100EEvPKT0_PS1_
; %bb.0:
	s_load_dwordx4 s[4:7], s[0:1], 0x0
	s_lshl_b32 s8, s2, 10
	s_movk_i32 s10, 0xff
	v_mov_b32_e32 v1, 0
	s_mov_b32 s9, 0xffff
	s_waitcnt lgkmcnt(0)
	s_add_u32 s0, s4, s8
	s_addc_u32 s1, s5, 0
	global_load_ubyte v3, v0, s[0:1] offset:256
	global_load_ubyte v4, v0, s[0:1] offset:768
	global_load_ubyte v5, v0, s[0:1]
	global_load_ubyte v6, v0, s[0:1] offset:512
	s_movk_i32 s11, 0x64
	s_mov_b32 s12, 0x1ff0000
	v_cmp_ne_u32_e32 vcc, 0, v0
	v_cmp_ne_u32_e64 s[0:1], s10, v0
	v_add_u32_e32 v2, -1, v0
	s_movk_i32 s13, 0x100
	s_waitcnt vmcnt(3)
	v_lshlrev_b16_e32 v3, 8, v3
	s_waitcnt vmcnt(2)
	v_lshlrev_b16_e32 v4, 8, v4
	s_waitcnt vmcnt(1)
	v_or_b32_e32 v3, v5, v3
	s_waitcnt vmcnt(0)
	v_or_b32_sdwa v4, v6, v4 dst_sel:WORD_1 dst_unused:UNUSED_PAD src0_sel:DWORD src1_sel:DWORD
	s_nop 0
	v_or_b32_sdwa v3, v3, v4 dst_sel:DWORD dst_unused:UNUSED_PAD src0_sel:WORD_0 src1_sel:DWORD
	s_branch .LBB93_2
.LBB93_1:                               ;   in Loop: Header=BB93_2 Depth=1
	s_or_b64 exec, exec, s[4:5]
	v_lshrrev_b32_e32 v9, 16, v6
	v_add_u16_e32 v7, v6, v3
	v_lshrrev_b32_e32 v10, 8, v6
	v_add_u16_sdwa v3, v9, v3 dst_sel:DWORD dst_unused:UNUSED_PAD src0_sel:DWORD src1_sel:WORD_1
	v_add_u16_e32 v5, v10, v5
	v_lshrrev_b32_e32 v10, 8, v8
	v_add_u16_sdwa v9, v3, v8 dst_sel:DWORD dst_unused:UNUSED_PAD src0_sel:DWORD src1_sel:WORD_1
	v_add_u16_sdwa v3, v6, v4 dst_sel:DWORD dst_unused:UNUSED_PAD src0_sel:BYTE_3 src1_sel:DWORD
	v_add_u16_e32 v5, v5, v10
	v_add_u16_sdwa v4, v3, v8 dst_sel:DWORD dst_unused:UNUSED_PAD src0_sel:DWORD src1_sel:BYTE_3
	v_add_u16_e32 v7, v7, v8
	v_lshlrev_b16_e32 v3, 8, v4
	v_lshlrev_b16_e32 v6, 8, v5
	v_or_b32_sdwa v3, v9, v3 dst_sel:WORD_1 dst_unused:UNUSED_PAD src0_sel:BYTE_0 src1_sel:DWORD
	v_or_b32_sdwa v6, v7, v6 dst_sel:DWORD dst_unused:UNUSED_PAD src0_sel:BYTE_0 src1_sel:DWORD
	s_add_i32 s11, s11, -1
	v_or_b32_sdwa v3, v6, v3 dst_sel:DWORD dst_unused:UNUSED_PAD src0_sel:WORD_0 src1_sel:DWORD
	s_cmp_lg_u32 s11, 0
	s_barrier
	s_cbranch_scc0 .LBB93_6
.LBB93_2:                               ; =>This Inner Loop Header: Depth=1
	v_and_b32_sdwa v6, v3, s10 dst_sel:DWORD dst_unused:UNUSED_PAD src0_sel:WORD_1 src1_sel:DWORD
	v_lshrrev_b32_e32 v4, 24, v3
	v_lshrrev_b32_e32 v5, 8, v3
	v_cmp_eq_u16_e64 s[2:3], v6, v4
	ds_write_b8 v0, v4
	s_waitcnt lgkmcnt(0)
	v_cndmask_b32_e64 v7, 0, 1, s[2:3]
	v_cmp_eq_u16_sdwa s[2:3], v5, v6 src0_sel:BYTE_0 src1_sel:DWORD
	v_lshlrev_b16_e32 v6, 8, v7
	s_barrier
	v_cndmask_b32_e64 v8, 0, 1, s[2:3]
	v_cmp_eq_u16_sdwa s[2:3], v3, v5 src0_sel:BYTE_0 src1_sel:BYTE_0
	v_or_b32_sdwa v6, v8, v6 dst_sel:WORD_1 dst_unused:UNUSED_PAD src0_sel:DWORD src1_sel:DWORD
	s_nop 0
	v_cndmask_b32_e64 v9, 0, 1, s[2:3]
	v_lshlrev_b16_e32 v10, 8, v9
	v_or_b32_e32 v10, 1, v10
	v_or_b32_sdwa v6, v10, v6 dst_sel:DWORD dst_unused:UNUSED_PAD src0_sel:WORD_0 src1_sel:DWORD
	s_and_saveexec_b64 s[2:3], vcc
	s_cbranch_execz .LBB93_4
; %bb.3:                                ;   in Loop: Header=BB93_2 Depth=1
	ds_read_u8 v10, v2
	v_and_b32_e32 v11, 0xffffff00, v6
	s_waitcnt lgkmcnt(0)
	v_cmp_eq_u16_sdwa s[4:5], v10, v3 src0_sel:DWORD src1_sel:BYTE_0
	s_nop 1
	v_cndmask_b32_e64 v10, 0, 1, s[4:5]
	v_or_b32_e32 v10, v10, v11
	v_and_b32_e32 v10, 0xffff, v10
	v_and_or_b32 v6, v6, s12, v10
.LBB93_4:                               ;   in Loop: Header=BB93_2 Depth=1
	s_or_b64 exec, exec, s[2:3]
	v_lshlrev_b16_e32 v8, 8, v8
	v_or_b32_e32 v8, v9, v8
	v_or_b32_sdwa v7, v7, s13 dst_sel:WORD_1 dst_unused:UNUSED_PAD src0_sel:DWORD src1_sel:DWORD
	ds_write_b8 v0, v3 offset:256
	v_or_b32_sdwa v8, v8, v7 dst_sel:DWORD dst_unused:UNUSED_PAD src0_sel:WORD_0 src1_sel:DWORD
	s_waitcnt lgkmcnt(0)
	s_barrier
	s_and_saveexec_b64 s[4:5], s[0:1]
	s_cbranch_execz .LBB93_1
; %bb.5:                                ;   in Loop: Header=BB93_2 Depth=1
	ds_read_u8 v7, v0 offset:257
	v_and_b32_sdwa v9, v8, s10 dst_sel:DWORD dst_unused:UNUSED_PAD src0_sel:WORD_1 src1_sel:DWORD
	s_waitcnt lgkmcnt(0)
	v_cmp_eq_u16_e64 s[2:3], v4, v7
	s_nop 1
	v_cndmask_b32_e64 v7, 0, 1, s[2:3]
	v_lshlrev_b16_e32 v7, 8, v7
	v_or_b32_sdwa v7, v9, v7 dst_sel:WORD_1 dst_unused:UNUSED_PAD src0_sel:DWORD src1_sel:DWORD
	s_nop 0
	v_and_or_b32 v8, v8, s9, v7
	s_branch .LBB93_1
.LBB93_6:
	s_add_u32 s0, s6, s8
	s_addc_u32 s1, s7, 0
	v_lshl_add_u64 v[0:1], s[0:1], 0, v[0:1]
	global_store_byte v[0:1], v7, off
	global_store_byte v[0:1], v5, off offset:256
	global_store_byte v[0:1], v9, off offset:512
	global_store_byte v[0:1], v4, off offset:768
	s_endpgm
	.section	.rodata,"a",@progbits
	.p2align	6, 0x0
	.amdhsa_kernel _Z6kernelI20flag_heads_and_tailsaLj256ELj4ELb0ELj100EEvPKT0_PS1_
		.amdhsa_group_segment_fixed_size 512
		.amdhsa_private_segment_fixed_size 0
		.amdhsa_kernarg_size 16
		.amdhsa_user_sgpr_count 2
		.amdhsa_user_sgpr_dispatch_ptr 0
		.amdhsa_user_sgpr_queue_ptr 0
		.amdhsa_user_sgpr_kernarg_segment_ptr 1
		.amdhsa_user_sgpr_dispatch_id 0
		.amdhsa_user_sgpr_kernarg_preload_length 0
		.amdhsa_user_sgpr_kernarg_preload_offset 0
		.amdhsa_user_sgpr_private_segment_size 0
		.amdhsa_uses_dynamic_stack 0
		.amdhsa_enable_private_segment 0
		.amdhsa_system_sgpr_workgroup_id_x 1
		.amdhsa_system_sgpr_workgroup_id_y 0
		.amdhsa_system_sgpr_workgroup_id_z 0
		.amdhsa_system_sgpr_workgroup_info 0
		.amdhsa_system_vgpr_workitem_id 0
		.amdhsa_next_free_vgpr 12
		.amdhsa_next_free_sgpr 14
		.amdhsa_accum_offset 12
		.amdhsa_reserve_vcc 1
		.amdhsa_float_round_mode_32 0
		.amdhsa_float_round_mode_16_64 0
		.amdhsa_float_denorm_mode_32 3
		.amdhsa_float_denorm_mode_16_64 3
		.amdhsa_dx10_clamp 1
		.amdhsa_ieee_mode 1
		.amdhsa_fp16_overflow 0
		.amdhsa_tg_split 0
		.amdhsa_exception_fp_ieee_invalid_op 0
		.amdhsa_exception_fp_denorm_src 0
		.amdhsa_exception_fp_ieee_div_zero 0
		.amdhsa_exception_fp_ieee_overflow 0
		.amdhsa_exception_fp_ieee_underflow 0
		.amdhsa_exception_fp_ieee_inexact 0
		.amdhsa_exception_int_div_zero 0
	.end_amdhsa_kernel
	.section	.text._Z6kernelI20flag_heads_and_tailsaLj256ELj4ELb0ELj100EEvPKT0_PS1_,"axG",@progbits,_Z6kernelI20flag_heads_and_tailsaLj256ELj4ELb0ELj100EEvPKT0_PS1_,comdat
.Lfunc_end93:
	.size	_Z6kernelI20flag_heads_and_tailsaLj256ELj4ELb0ELj100EEvPKT0_PS1_, .Lfunc_end93-_Z6kernelI20flag_heads_and_tailsaLj256ELj4ELb0ELj100EEvPKT0_PS1_
                                        ; -- End function
	.section	.AMDGPU.csdata,"",@progbits
; Kernel info:
; codeLenInByte = 620
; NumSgprs: 20
; NumVgprs: 12
; NumAgprs: 0
; TotalNumVgprs: 12
; ScratchSize: 0
; MemoryBound: 0
; FloatMode: 240
; IeeeMode: 1
; LDSByteSize: 512 bytes/workgroup (compile time only)
; SGPRBlocks: 2
; VGPRBlocks: 1
; NumSGPRsForWavesPerEU: 20
; NumVGPRsForWavesPerEU: 12
; AccumOffset: 12
; Occupancy: 8
; WaveLimiterHint : 1
; COMPUTE_PGM_RSRC2:SCRATCH_EN: 0
; COMPUTE_PGM_RSRC2:USER_SGPR: 2
; COMPUTE_PGM_RSRC2:TRAP_HANDLER: 0
; COMPUTE_PGM_RSRC2:TGID_X_EN: 1
; COMPUTE_PGM_RSRC2:TGID_Y_EN: 0
; COMPUTE_PGM_RSRC2:TGID_Z_EN: 0
; COMPUTE_PGM_RSRC2:TIDIG_COMP_CNT: 0
; COMPUTE_PGM_RSRC3_GFX90A:ACCUM_OFFSET: 2
; COMPUTE_PGM_RSRC3_GFX90A:TG_SPLIT: 0
	.section	.text._Z6kernelI20flag_heads_and_tailsaLj256ELj8ELb0ELj100EEvPKT0_PS1_,"axG",@progbits,_Z6kernelI20flag_heads_and_tailsaLj256ELj8ELb0ELj100EEvPKT0_PS1_,comdat
	.protected	_Z6kernelI20flag_heads_and_tailsaLj256ELj8ELb0ELj100EEvPKT0_PS1_ ; -- Begin function _Z6kernelI20flag_heads_and_tailsaLj256ELj8ELb0ELj100EEvPKT0_PS1_
	.globl	_Z6kernelI20flag_heads_and_tailsaLj256ELj8ELb0ELj100EEvPKT0_PS1_
	.p2align	8
	.type	_Z6kernelI20flag_heads_and_tailsaLj256ELj8ELb0ELj100EEvPKT0_PS1_,@function
_Z6kernelI20flag_heads_and_tailsaLj256ELj8ELb0ELj100EEvPKT0_PS1_: ; @_Z6kernelI20flag_heads_and_tailsaLj256ELj8ELb0ELj100EEvPKT0_PS1_
; %bb.0:
	s_load_dwordx4 s[4:7], s[0:1], 0x0
	s_lshl_b32 s8, s2, 11
	s_movk_i32 s9, 0xff
	v_mov_b32_e32 v1, 0
	s_movk_i32 s10, 0x64
	s_waitcnt lgkmcnt(0)
	s_add_u32 s0, s4, s8
	s_addc_u32 s1, s5, 0
	global_load_ubyte v2, v0, s[0:1] offset:256
	global_load_ubyte v3, v0, s[0:1] offset:768
	;; [unrolled: 1-line block ×4, first 2 shown]
	global_load_ubyte v6, v0, s[0:1]
	global_load_ubyte v7, v0, s[0:1] offset:512
	global_load_ubyte v9, v0, s[0:1] offset:1024
	;; [unrolled: 1-line block ×3, first 2 shown]
	s_movk_i32 s11, 0x100
	s_mov_b32 s12, 0x3020104
	v_cmp_ne_u32_e32 vcc, 0, v0
	v_cmp_ne_u32_e64 s[0:1], s9, v0
	v_add_u32_e32 v8, -1, v0
	s_waitcnt vmcnt(7)
	v_lshlrev_b16_e32 v2, 8, v2
	s_waitcnt vmcnt(6)
	v_lshlrev_b16_e32 v3, 8, v3
	;; [unrolled: 2-line block ×4, first 2 shown]
	s_waitcnt vmcnt(3)
	v_or_b32_e32 v2, v6, v2
	s_waitcnt vmcnt(2)
	v_or_b32_sdwa v3, v7, v3 dst_sel:WORD_1 dst_unused:UNUSED_PAD src0_sel:DWORD src1_sel:DWORD
	s_waitcnt vmcnt(1)
	v_or_b32_e32 v4, v9, v4
	s_waitcnt vmcnt(0)
	v_or_b32_sdwa v5, v10, v5 dst_sel:WORD_1 dst_unused:UNUSED_PAD src0_sel:DWORD src1_sel:DWORD
	v_or_b32_sdwa v2, v2, v3 dst_sel:DWORD dst_unused:UNUSED_PAD src0_sel:WORD_0 src1_sel:DWORD
	v_or_b32_sdwa v3, v4, v5 dst_sel:DWORD dst_unused:UNUSED_PAD src0_sel:WORD_0 src1_sel:DWORD
	v_mov_b32_e32 v9, 8
	s_branch .LBB94_2
.LBB94_1:                               ;   in Loop: Header=BB94_2 Depth=1
	s_or_b64 exec, exec, s[4:5]
	v_lshrrev_b32_e32 v14, 8, v6
	v_add_u16_e32 v11, v14, v11
	v_lshrrev_b32_e32 v14, 8, v15
	v_add_u16_e32 v11, v11, v14
	;; [unrolled: 2-line block ×3, first 2 shown]
	v_add_u16_sdwa v2, v14, v2 dst_sel:DWORD dst_unused:UNUSED_PAD src0_sel:DWORD src1_sel:WORD_1
	v_lshrrev_b64 v[16:17], 24, v[6:7]
	v_add_u16_sdwa v14, v2, v15 dst_sel:DWORD dst_unused:UNUSED_PAD src0_sel:DWORD src1_sel:WORD_1
	v_add_u16_e32 v2, v16, v4
	v_add_u16_sdwa v4, v2, v15 dst_sel:DWORD dst_unused:UNUSED_PAD src0_sel:DWORD src1_sel:BYTE_3
	v_add_u16_e32 v2, v7, v3
	v_add_u16_e32 v6, v2, v13
	v_lshrrev_b32_e32 v2, 8, v7
	v_lshrrev_b32_e32 v18, 8, v13
	v_add_u16_e32 v2, v2, v10
	v_add_u16_e32 v10, v2, v18
	v_lshrrev_b32_e32 v2, 16, v7
	v_add_u16_sdwa v2, v2, v3 dst_sel:DWORD dst_unused:UNUSED_PAD src0_sel:DWORD src1_sel:WORD_1
	v_add_u16_e32 v12, v12, v15
	v_add_u16_sdwa v15, v2, v13 dst_sel:DWORD dst_unused:UNUSED_PAD src0_sel:DWORD src1_sel:WORD_1
	v_add_u16_sdwa v2, v7, v5 dst_sel:DWORD dst_unused:UNUSED_PAD src0_sel:BYTE_3 src1_sel:DWORD
	v_add_u16_sdwa v5, v2, v13 dst_sel:DWORD dst_unused:UNUSED_PAD src0_sel:DWORD src1_sel:BYTE_3
	v_lshlrev_b16_e32 v2, 8, v4
	v_lshlrev_b16_e32 v3, 8, v11
	v_or_b32_sdwa v2, v14, v2 dst_sel:WORD_1 dst_unused:UNUSED_PAD src0_sel:BYTE_0 src1_sel:DWORD
	v_or_b32_sdwa v3, v12, v3 dst_sel:DWORD dst_unused:UNUSED_PAD src0_sel:BYTE_0 src1_sel:DWORD
	v_or_b32_sdwa v2, v3, v2 dst_sel:DWORD dst_unused:UNUSED_PAD src0_sel:WORD_0 src1_sel:DWORD
	v_lshlrev_b16_e32 v3, 8, v5
	v_lshlrev_b16_e32 v7, 8, v10
	v_or_b32_sdwa v3, v15, v3 dst_sel:WORD_1 dst_unused:UNUSED_PAD src0_sel:BYTE_0 src1_sel:DWORD
	v_or_b32_sdwa v7, v6, v7 dst_sel:DWORD dst_unused:UNUSED_PAD src0_sel:BYTE_0 src1_sel:DWORD
	s_add_i32 s10, s10, -1
	s_cmp_lg_u32 s10, 0
	v_or_b32_sdwa v3, v7, v3 dst_sel:DWORD dst_unused:UNUSED_PAD src0_sel:WORD_0 src1_sel:DWORD
	s_barrier
	s_cbranch_scc0 .LBB94_6
.LBB94_2:                               ; =>This Inner Loop Header: Depth=1
	v_lshrrev_b64 v[4:5], 24, v[2:3]
	v_and_b32_sdwa v7, v3, s9 dst_sel:DWORD dst_unused:UNUSED_PAD src0_sel:WORD_1 src1_sel:DWORD
	v_lshrrev_b32_e32 v5, 24, v3
	v_lshrrev_b32_e32 v10, 8, v3
	v_cmp_eq_u16_e64 s[2:3], v7, v5
	v_and_b32_sdwa v6, v2, s9 dst_sel:DWORD dst_unused:UNUSED_PAD src0_sel:WORD_1 src1_sel:DWORD
	v_lshrrev_b32_e32 v11, 8, v2
	v_cndmask_b32_e64 v12, 0, 1, s[2:3]
	v_cmp_eq_u16_sdwa s[2:3], v10, v7 src0_sel:BYTE_0 src1_sel:DWORD
	v_lshlrev_b16_e32 v19, 8, v12
	ds_write_b8 v0, v5
	v_cndmask_b32_e64 v13, 0, 1, s[2:3]
	v_cmp_eq_u16_sdwa s[2:3], v3, v10 src0_sel:BYTE_0 src1_sel:BYTE_0
	v_or_b32_sdwa v19, v13, v19 dst_sel:WORD_1 dst_unused:UNUSED_PAD src0_sel:DWORD src1_sel:DWORD
	s_waitcnt lgkmcnt(0)
	v_cndmask_b32_e64 v14, 0, 1, s[2:3]
	v_cmp_eq_u16_sdwa s[2:3], v4, v3 src0_sel:BYTE_0 src1_sel:BYTE_0
	s_barrier
	s_nop 0
	v_cndmask_b32_e64 v15, 0, 1, s[2:3]
	v_cmp_eq_u16_sdwa s[2:3], v6, v4 src0_sel:DWORD src1_sel:BYTE_0
	s_nop 1
	v_cndmask_b32_e64 v16, 0, 1, s[2:3]
	v_cmp_eq_u16_sdwa s[2:3], v11, v6 src0_sel:BYTE_0 src1_sel:DWORD
	v_lshlrev_b16_e32 v6, 8, v16
	s_nop 0
	v_cndmask_b32_e64 v17, 0, 1, s[2:3]
	v_cmp_eq_u16_sdwa s[2:3], v2, v11 src0_sel:BYTE_0 src1_sel:BYTE_0
	v_or_b32_sdwa v6, v17, v6 dst_sel:WORD_1 dst_unused:UNUSED_PAD src0_sel:DWORD src1_sel:DWORD
	s_nop 0
	v_cndmask_b32_e64 v18, 0, 1, s[2:3]
	v_lshlrev_b16_e32 v7, 8, v18
	v_or_b32_e32 v7, 1, v7
	v_or_b32_sdwa v6, v7, v6 dst_sel:DWORD dst_unused:UNUSED_PAD src0_sel:WORD_0 src1_sel:DWORD
	v_lshlrev_b16_e32 v7, 8, v14
	v_or_b32_e32 v7, v15, v7
	v_or_b32_sdwa v7, v7, v19 dst_sel:DWORD dst_unused:UNUSED_PAD src0_sel:WORD_0 src1_sel:DWORD
	s_and_saveexec_b64 s[2:3], vcc
	s_cbranch_execz .LBB94_4
; %bb.3:                                ;   in Loop: Header=BB94_2 Depth=1
	ds_read_u8 v19, v8
	v_lshrrev_b32_e32 v21, 24, v6
	v_lshrrev_b32_sdwa v20, v9, v6 dst_sel:BYTE_1 dst_unused:UNUSED_PAD src0_sel:DWORD src1_sel:DWORD
	v_lshlrev_b16_e32 v21, 8, v21
	v_and_b32_sdwa v6, v6, s9 dst_sel:DWORD dst_unused:UNUSED_PAD src0_sel:WORD_1 src1_sel:DWORD
	s_waitcnt lgkmcnt(0)
	v_cmp_eq_u16_sdwa s[4:5], v19, v2 src0_sel:DWORD src1_sel:BYTE_0
	v_or_b32_sdwa v6, v6, v21 dst_sel:WORD_1 dst_unused:UNUSED_PAD src0_sel:DWORD src1_sel:DWORD
	s_nop 0
	v_cndmask_b32_e64 v19, 0, 1, s[4:5]
	v_or_b32_e32 v19, v19, v20
	v_or_b32_sdwa v6, v19, v6 dst_sel:DWORD dst_unused:UNUSED_PAD src0_sel:WORD_0 src1_sel:DWORD
.LBB94_4:                               ;   in Loop: Header=BB94_2 Depth=1
	s_or_b64 exec, exec, s[2:3]
	v_lshlrev_b16_e32 v17, 8, v17
	v_lshlrev_b16_e32 v15, 8, v15
	;; [unrolled: 1-line block ×3, first 2 shown]
	v_or_b32_e32 v17, v18, v17
	v_or_b32_sdwa v15, v16, v15 dst_sel:WORD_1 dst_unused:UNUSED_PAD src0_sel:DWORD src1_sel:DWORD
	v_or_b32_e32 v13, v14, v13
	v_or_b32_sdwa v12, v12, s11 dst_sel:WORD_1 dst_unused:UNUSED_PAD src0_sel:DWORD src1_sel:DWORD
	v_or_b32_sdwa v15, v17, v15 dst_sel:DWORD dst_unused:UNUSED_PAD src0_sel:WORD_0 src1_sel:DWORD
	v_or_b32_sdwa v13, v13, v12 dst_sel:DWORD dst_unused:UNUSED_PAD src0_sel:WORD_0 src1_sel:DWORD
	ds_write_b8 v0, v2 offset:256
	s_waitcnt lgkmcnt(0)
	s_barrier
	s_and_saveexec_b64 s[4:5], s[0:1]
	s_cbranch_execz .LBB94_1
; %bb.5:                                ;   in Loop: Header=BB94_2 Depth=1
	ds_read_u8 v12, v0 offset:257
	v_lshrrev_b32_sdwa v14, v9, v13 dst_sel:BYTE_1 dst_unused:UNUSED_PAD src0_sel:DWORD src1_sel:DWORD
	v_perm_b32 v15, v15, v15, s12
	v_or_b32_sdwa v14, v13, v14 dst_sel:DWORD dst_unused:UNUSED_PAD src0_sel:BYTE_0 src1_sel:DWORD
	v_and_b32_sdwa v13, v13, s9 dst_sel:DWORD dst_unused:UNUSED_PAD src0_sel:WORD_1 src1_sel:DWORD
	s_waitcnt lgkmcnt(0)
	v_cmp_eq_u16_e64 s[2:3], v5, v12
	s_nop 1
	v_cndmask_b32_e64 v12, 0, 1, s[2:3]
	v_lshlrev_b16_e32 v12, 8, v12
	v_or_b32_sdwa v12, v13, v12 dst_sel:WORD_1 dst_unused:UNUSED_PAD src0_sel:DWORD src1_sel:DWORD
	s_nop 0
	v_or_b32_sdwa v13, v14, v12 dst_sel:DWORD dst_unused:UNUSED_PAD src0_sel:WORD_0 src1_sel:DWORD
	s_branch .LBB94_1
.LBB94_6:
	s_add_u32 s0, s6, s8
	s_addc_u32 s1, s7, 0
	v_lshl_add_u64 v[0:1], s[0:1], 0, v[0:1]
	global_store_byte v[0:1], v12, off
	global_store_byte v[0:1], v11, off offset:256
	global_store_byte v[0:1], v14, off offset:512
	;; [unrolled: 1-line block ×7, first 2 shown]
	s_endpgm
	.section	.rodata,"a",@progbits
	.p2align	6, 0x0
	.amdhsa_kernel _Z6kernelI20flag_heads_and_tailsaLj256ELj8ELb0ELj100EEvPKT0_PS1_
		.amdhsa_group_segment_fixed_size 512
		.amdhsa_private_segment_fixed_size 0
		.amdhsa_kernarg_size 16
		.amdhsa_user_sgpr_count 2
		.amdhsa_user_sgpr_dispatch_ptr 0
		.amdhsa_user_sgpr_queue_ptr 0
		.amdhsa_user_sgpr_kernarg_segment_ptr 1
		.amdhsa_user_sgpr_dispatch_id 0
		.amdhsa_user_sgpr_kernarg_preload_length 0
		.amdhsa_user_sgpr_kernarg_preload_offset 0
		.amdhsa_user_sgpr_private_segment_size 0
		.amdhsa_uses_dynamic_stack 0
		.amdhsa_enable_private_segment 0
		.amdhsa_system_sgpr_workgroup_id_x 1
		.amdhsa_system_sgpr_workgroup_id_y 0
		.amdhsa_system_sgpr_workgroup_id_z 0
		.amdhsa_system_sgpr_workgroup_info 0
		.amdhsa_system_vgpr_workitem_id 0
		.amdhsa_next_free_vgpr 22
		.amdhsa_next_free_sgpr 13
		.amdhsa_accum_offset 24
		.amdhsa_reserve_vcc 1
		.amdhsa_float_round_mode_32 0
		.amdhsa_float_round_mode_16_64 0
		.amdhsa_float_denorm_mode_32 3
		.amdhsa_float_denorm_mode_16_64 3
		.amdhsa_dx10_clamp 1
		.amdhsa_ieee_mode 1
		.amdhsa_fp16_overflow 0
		.amdhsa_tg_split 0
		.amdhsa_exception_fp_ieee_invalid_op 0
		.amdhsa_exception_fp_denorm_src 0
		.amdhsa_exception_fp_ieee_div_zero 0
		.amdhsa_exception_fp_ieee_overflow 0
		.amdhsa_exception_fp_ieee_underflow 0
		.amdhsa_exception_fp_ieee_inexact 0
		.amdhsa_exception_int_div_zero 0
	.end_amdhsa_kernel
	.section	.text._Z6kernelI20flag_heads_and_tailsaLj256ELj8ELb0ELj100EEvPKT0_PS1_,"axG",@progbits,_Z6kernelI20flag_heads_and_tailsaLj256ELj8ELb0ELj100EEvPKT0_PS1_,comdat
.Lfunc_end94:
	.size	_Z6kernelI20flag_heads_and_tailsaLj256ELj8ELb0ELj100EEvPKT0_PS1_, .Lfunc_end94-_Z6kernelI20flag_heads_and_tailsaLj256ELj8ELb0ELj100EEvPKT0_PS1_
                                        ; -- End function
	.section	.AMDGPU.csdata,"",@progbits
; Kernel info:
; codeLenInByte = 1008
; NumSgprs: 19
; NumVgprs: 22
; NumAgprs: 0
; TotalNumVgprs: 22
; ScratchSize: 0
; MemoryBound: 0
; FloatMode: 240
; IeeeMode: 1
; LDSByteSize: 512 bytes/workgroup (compile time only)
; SGPRBlocks: 2
; VGPRBlocks: 2
; NumSGPRsForWavesPerEU: 19
; NumVGPRsForWavesPerEU: 22
; AccumOffset: 24
; Occupancy: 8
; WaveLimiterHint : 1
; COMPUTE_PGM_RSRC2:SCRATCH_EN: 0
; COMPUTE_PGM_RSRC2:USER_SGPR: 2
; COMPUTE_PGM_RSRC2:TRAP_HANDLER: 0
; COMPUTE_PGM_RSRC2:TGID_X_EN: 1
; COMPUTE_PGM_RSRC2:TGID_Y_EN: 0
; COMPUTE_PGM_RSRC2:TGID_Z_EN: 0
; COMPUTE_PGM_RSRC2:TIDIG_COMP_CNT: 0
; COMPUTE_PGM_RSRC3_GFX90A:ACCUM_OFFSET: 5
; COMPUTE_PGM_RSRC3_GFX90A:TG_SPLIT: 0
	.section	.text._Z6kernelI20flag_heads_and_tailsaLj256ELj1ELb1ELj100EEvPKT0_PS1_,"axG",@progbits,_Z6kernelI20flag_heads_and_tailsaLj256ELj1ELb1ELj100EEvPKT0_PS1_,comdat
	.protected	_Z6kernelI20flag_heads_and_tailsaLj256ELj1ELb1ELj100EEvPKT0_PS1_ ; -- Begin function _Z6kernelI20flag_heads_and_tailsaLj256ELj1ELb1ELj100EEvPKT0_PS1_
	.globl	_Z6kernelI20flag_heads_and_tailsaLj256ELj1ELb1ELj100EEvPKT0_PS1_
	.p2align	8
	.type	_Z6kernelI20flag_heads_and_tailsaLj256ELj1ELb1ELj100EEvPKT0_PS1_,@function
_Z6kernelI20flag_heads_and_tailsaLj256ELj1ELb1ELj100EEvPKT0_PS1_: ; @_Z6kernelI20flag_heads_and_tailsaLj256ELj1ELb1ELj100EEvPKT0_PS1_
; %bb.0:
	s_load_dwordx4 s[4:7], s[0:1], 0x0
	s_lshl_b32 s8, s2, 8
	v_mov_b32_e32 v1, 0
	v_cmp_ne_u32_e32 vcc, 0, v0
	v_add_u32_e32 v3, -1, v0
	s_waitcnt lgkmcnt(0)
	s_add_u32 s0, s4, s8
	s_addc_u32 s1, s5, 0
	global_load_ubyte v2, v0, s[0:1]
	s_movk_i32 s0, 0xff
	v_cmp_ne_u32_e64 s[0:1], s0, v0
	s_movk_i32 s4, 0x64
	s_branch .LBB95_2
.LBB95_1:                               ;   in Loop: Header=BB95_2 Depth=1
	s_or_b64 exec, exec, s[2:3]
	v_cmp_eq_u16_sdwa s[2:3], v4, v2 src0_sel:BYTE_0 src1_sel:BYTE_0
	s_add_i32 s4, s4, -1
	s_cmp_lg_u32 s4, 0
	v_cndmask_b32_e64 v4, 0, 1, s[2:3]
	s_waitcnt lgkmcnt(0)
	v_cmp_eq_u16_sdwa s[2:3], v5, v2 src0_sel:BYTE_0 src1_sel:BYTE_0
	v_add_u16_e32 v2, v2, v4
	s_nop 0
	v_cndmask_b32_e64 v5, 0, 1, s[2:3]
	v_add_u16_e32 v2, v2, v5
	s_barrier
	s_cbranch_scc0 .LBB95_6
.LBB95_2:                               ; =>This Inner Loop Header: Depth=1
	v_mov_b32_e32 v4, 0x7b
	s_waitcnt vmcnt(0)
	ds_write_b8 v0, v2
	s_waitcnt lgkmcnt(0)
	s_barrier
	s_and_saveexec_b64 s[2:3], vcc
	s_cbranch_execz .LBB95_4
; %bb.3:                                ;   in Loop: Header=BB95_2 Depth=1
	ds_read_u8 v4, v3
.LBB95_4:                               ;   in Loop: Header=BB95_2 Depth=1
	s_or_b64 exec, exec, s[2:3]
	v_mov_b32_e32 v5, 0xea
	ds_write_b8 v0, v2 offset:256
	s_waitcnt lgkmcnt(0)
	s_barrier
	s_and_saveexec_b64 s[2:3], s[0:1]
	s_cbranch_execz .LBB95_1
; %bb.5:                                ;   in Loop: Header=BB95_2 Depth=1
	ds_read_u8 v5, v0 offset:257
	s_branch .LBB95_1
.LBB95_6:
	s_add_u32 s0, s6, s8
	s_addc_u32 s1, s7, 0
	v_lshl_add_u64 v[0:1], s[0:1], 0, v[0:1]
	global_store_byte v[0:1], v2, off
	s_endpgm
	.section	.rodata,"a",@progbits
	.p2align	6, 0x0
	.amdhsa_kernel _Z6kernelI20flag_heads_and_tailsaLj256ELj1ELb1ELj100EEvPKT0_PS1_
		.amdhsa_group_segment_fixed_size 512
		.amdhsa_private_segment_fixed_size 0
		.amdhsa_kernarg_size 16
		.amdhsa_user_sgpr_count 2
		.amdhsa_user_sgpr_dispatch_ptr 0
		.amdhsa_user_sgpr_queue_ptr 0
		.amdhsa_user_sgpr_kernarg_segment_ptr 1
		.amdhsa_user_sgpr_dispatch_id 0
		.amdhsa_user_sgpr_kernarg_preload_length 0
		.amdhsa_user_sgpr_kernarg_preload_offset 0
		.amdhsa_user_sgpr_private_segment_size 0
		.amdhsa_uses_dynamic_stack 0
		.amdhsa_enable_private_segment 0
		.amdhsa_system_sgpr_workgroup_id_x 1
		.amdhsa_system_sgpr_workgroup_id_y 0
		.amdhsa_system_sgpr_workgroup_id_z 0
		.amdhsa_system_sgpr_workgroup_info 0
		.amdhsa_system_vgpr_workitem_id 0
		.amdhsa_next_free_vgpr 6
		.amdhsa_next_free_sgpr 9
		.amdhsa_accum_offset 8
		.amdhsa_reserve_vcc 1
		.amdhsa_float_round_mode_32 0
		.amdhsa_float_round_mode_16_64 0
		.amdhsa_float_denorm_mode_32 3
		.amdhsa_float_denorm_mode_16_64 3
		.amdhsa_dx10_clamp 1
		.amdhsa_ieee_mode 1
		.amdhsa_fp16_overflow 0
		.amdhsa_tg_split 0
		.amdhsa_exception_fp_ieee_invalid_op 0
		.amdhsa_exception_fp_denorm_src 0
		.amdhsa_exception_fp_ieee_div_zero 0
		.amdhsa_exception_fp_ieee_overflow 0
		.amdhsa_exception_fp_ieee_underflow 0
		.amdhsa_exception_fp_ieee_inexact 0
		.amdhsa_exception_int_div_zero 0
	.end_amdhsa_kernel
	.section	.text._Z6kernelI20flag_heads_and_tailsaLj256ELj1ELb1ELj100EEvPKT0_PS1_,"axG",@progbits,_Z6kernelI20flag_heads_and_tailsaLj256ELj1ELb1ELj100EEvPKT0_PS1_,comdat
.Lfunc_end95:
	.size	_Z6kernelI20flag_heads_and_tailsaLj256ELj1ELb1ELj100EEvPKT0_PS1_, .Lfunc_end95-_Z6kernelI20flag_heads_and_tailsaLj256ELj1ELb1ELj100EEvPKT0_PS1_
                                        ; -- End function
	.section	.AMDGPU.csdata,"",@progbits
; Kernel info:
; codeLenInByte = 252
; NumSgprs: 15
; NumVgprs: 6
; NumAgprs: 0
; TotalNumVgprs: 6
; ScratchSize: 0
; MemoryBound: 0
; FloatMode: 240
; IeeeMode: 1
; LDSByteSize: 512 bytes/workgroup (compile time only)
; SGPRBlocks: 1
; VGPRBlocks: 0
; NumSGPRsForWavesPerEU: 15
; NumVGPRsForWavesPerEU: 6
; AccumOffset: 8
; Occupancy: 8
; WaveLimiterHint : 0
; COMPUTE_PGM_RSRC2:SCRATCH_EN: 0
; COMPUTE_PGM_RSRC2:USER_SGPR: 2
; COMPUTE_PGM_RSRC2:TRAP_HANDLER: 0
; COMPUTE_PGM_RSRC2:TGID_X_EN: 1
; COMPUTE_PGM_RSRC2:TGID_Y_EN: 0
; COMPUTE_PGM_RSRC2:TGID_Z_EN: 0
; COMPUTE_PGM_RSRC2:TIDIG_COMP_CNT: 0
; COMPUTE_PGM_RSRC3_GFX90A:ACCUM_OFFSET: 1
; COMPUTE_PGM_RSRC3_GFX90A:TG_SPLIT: 0
	.section	.text._Z6kernelI20flag_heads_and_tailsaLj256ELj2ELb1ELj100EEvPKT0_PS1_,"axG",@progbits,_Z6kernelI20flag_heads_and_tailsaLj256ELj2ELb1ELj100EEvPKT0_PS1_,comdat
	.protected	_Z6kernelI20flag_heads_and_tailsaLj256ELj2ELb1ELj100EEvPKT0_PS1_ ; -- Begin function _Z6kernelI20flag_heads_and_tailsaLj256ELj2ELb1ELj100EEvPKT0_PS1_
	.globl	_Z6kernelI20flag_heads_and_tailsaLj256ELj2ELb1ELj100EEvPKT0_PS1_
	.p2align	8
	.type	_Z6kernelI20flag_heads_and_tailsaLj256ELj2ELb1ELj100EEvPKT0_PS1_,@function
_Z6kernelI20flag_heads_and_tailsaLj256ELj2ELb1ELj100EEvPKT0_PS1_: ; @_Z6kernelI20flag_heads_and_tailsaLj256ELj2ELb1ELj100EEvPKT0_PS1_
; %bb.0:
	s_load_dwordx4 s[4:7], s[0:1], 0x0
	s_lshl_b32 s8, s2, 9
	v_mov_b32_e32 v1, 0
	v_cmp_ne_u32_e32 vcc, 0, v0
	v_add_u32_e32 v2, -1, v0
	s_waitcnt lgkmcnt(0)
	s_add_u32 s0, s4, s8
	s_addc_u32 s1, s5, 0
	global_load_ubyte v3, v0, s[0:1] offset:256
	global_load_ubyte v4, v0, s[0:1]
	s_movk_i32 s0, 0xff
	v_cmp_ne_u32_e64 s[0:1], s0, v0
	s_movk_i32 s4, 0x64
	s_waitcnt vmcnt(1)
	v_lshlrev_b16_e32 v3, 8, v3
	s_waitcnt vmcnt(0)
	v_or_b32_e32 v3, v4, v3
	v_and_b32_e32 v3, 0xffff, v3
	s_branch .LBB96_2
.LBB96_1:                               ;   in Loop: Header=BB96_2 Depth=1
	s_or_b64 exec, exec, s[2:3]
	v_cmp_eq_u16_sdwa s[2:3], v5, v3 src0_sel:BYTE_0 src1_sel:BYTE_0
	s_add_i32 s4, s4, -1
	s_cmp_lg_u32 s4, 0
	v_cndmask_b32_e64 v5, 0, 1, s[2:3]
	v_cmp_eq_u16_sdwa s[2:3], v3, v4 src0_sel:BYTE_0 src1_sel:DWORD
	s_waitcnt lgkmcnt(0)
	s_barrier
	v_cndmask_b32_e64 v7, 0, 1, s[2:3]
	v_cmp_eq_u16_sdwa s[2:3], v6, v4 src0_sel:BYTE_0 src1_sel:DWORD
	v_add_u16_e32 v3, v3, v7
	v_add_u16_e32 v5, v3, v5
	v_cndmask_b32_e64 v6, 0, 1, s[2:3]
	v_add_u16_e32 v3, v4, v7
	v_add_u16_e32 v4, v3, v6
	v_lshlrev_b16_e32 v3, 8, v4
	v_or_b32_sdwa v3, v5, v3 dst_sel:DWORD dst_unused:UNUSED_PAD src0_sel:BYTE_0 src1_sel:DWORD
	v_and_b32_e32 v3, 0xffff, v3
	s_cbranch_scc0 .LBB96_6
.LBB96_2:                               ; =>This Inner Loop Header: Depth=1
	v_lshrrev_b16_e32 v4, 8, v3
	v_mov_b32_e32 v5, 0x7b
	ds_write_b8 v0, v4
	s_waitcnt lgkmcnt(0)
	s_barrier
	s_and_saveexec_b64 s[2:3], vcc
	s_cbranch_execz .LBB96_4
; %bb.3:                                ;   in Loop: Header=BB96_2 Depth=1
	ds_read_u8 v5, v2
.LBB96_4:                               ;   in Loop: Header=BB96_2 Depth=1
	s_or_b64 exec, exec, s[2:3]
	v_mov_b32_e32 v6, 0xea
	ds_write_b8 v0, v3 offset:256
	s_waitcnt lgkmcnt(0)
	s_barrier
	s_and_saveexec_b64 s[2:3], s[0:1]
	s_cbranch_execz .LBB96_1
; %bb.5:                                ;   in Loop: Header=BB96_2 Depth=1
	ds_read_u8 v6, v0 offset:257
	s_branch .LBB96_1
.LBB96_6:
	s_add_u32 s0, s6, s8
	s_addc_u32 s1, s7, 0
	v_lshl_add_u64 v[0:1], s[0:1], 0, v[0:1]
	global_store_byte v[0:1], v5, off
	global_store_byte v[0:1], v4, off offset:256
	s_endpgm
	.section	.rodata,"a",@progbits
	.p2align	6, 0x0
	.amdhsa_kernel _Z6kernelI20flag_heads_and_tailsaLj256ELj2ELb1ELj100EEvPKT0_PS1_
		.amdhsa_group_segment_fixed_size 512
		.amdhsa_private_segment_fixed_size 0
		.amdhsa_kernarg_size 16
		.amdhsa_user_sgpr_count 2
		.amdhsa_user_sgpr_dispatch_ptr 0
		.amdhsa_user_sgpr_queue_ptr 0
		.amdhsa_user_sgpr_kernarg_segment_ptr 1
		.amdhsa_user_sgpr_dispatch_id 0
		.amdhsa_user_sgpr_kernarg_preload_length 0
		.amdhsa_user_sgpr_kernarg_preload_offset 0
		.amdhsa_user_sgpr_private_segment_size 0
		.amdhsa_uses_dynamic_stack 0
		.amdhsa_enable_private_segment 0
		.amdhsa_system_sgpr_workgroup_id_x 1
		.amdhsa_system_sgpr_workgroup_id_y 0
		.amdhsa_system_sgpr_workgroup_id_z 0
		.amdhsa_system_sgpr_workgroup_info 0
		.amdhsa_system_vgpr_workitem_id 0
		.amdhsa_next_free_vgpr 8
		.amdhsa_next_free_sgpr 9
		.amdhsa_accum_offset 8
		.amdhsa_reserve_vcc 1
		.amdhsa_float_round_mode_32 0
		.amdhsa_float_round_mode_16_64 0
		.amdhsa_float_denorm_mode_32 3
		.amdhsa_float_denorm_mode_16_64 3
		.amdhsa_dx10_clamp 1
		.amdhsa_ieee_mode 1
		.amdhsa_fp16_overflow 0
		.amdhsa_tg_split 0
		.amdhsa_exception_fp_ieee_invalid_op 0
		.amdhsa_exception_fp_denorm_src 0
		.amdhsa_exception_fp_ieee_div_zero 0
		.amdhsa_exception_fp_ieee_overflow 0
		.amdhsa_exception_fp_ieee_underflow 0
		.amdhsa_exception_fp_ieee_inexact 0
		.amdhsa_exception_int_div_zero 0
	.end_amdhsa_kernel
	.section	.text._Z6kernelI20flag_heads_and_tailsaLj256ELj2ELb1ELj100EEvPKT0_PS1_,"axG",@progbits,_Z6kernelI20flag_heads_and_tailsaLj256ELj2ELb1ELj100EEvPKT0_PS1_,comdat
.Lfunc_end96:
	.size	_Z6kernelI20flag_heads_and_tailsaLj256ELj2ELb1ELj100EEvPKT0_PS1_, .Lfunc_end96-_Z6kernelI20flag_heads_and_tailsaLj256ELj2ELb1ELj100EEvPKT0_PS1_
                                        ; -- End function
	.section	.AMDGPU.csdata,"",@progbits
; Kernel info:
; codeLenInByte = 332
; NumSgprs: 15
; NumVgprs: 8
; NumAgprs: 0
; TotalNumVgprs: 8
; ScratchSize: 0
; MemoryBound: 0
; FloatMode: 240
; IeeeMode: 1
; LDSByteSize: 512 bytes/workgroup (compile time only)
; SGPRBlocks: 1
; VGPRBlocks: 0
; NumSGPRsForWavesPerEU: 15
; NumVGPRsForWavesPerEU: 8
; AccumOffset: 8
; Occupancy: 8
; WaveLimiterHint : 1
; COMPUTE_PGM_RSRC2:SCRATCH_EN: 0
; COMPUTE_PGM_RSRC2:USER_SGPR: 2
; COMPUTE_PGM_RSRC2:TRAP_HANDLER: 0
; COMPUTE_PGM_RSRC2:TGID_X_EN: 1
; COMPUTE_PGM_RSRC2:TGID_Y_EN: 0
; COMPUTE_PGM_RSRC2:TGID_Z_EN: 0
; COMPUTE_PGM_RSRC2:TIDIG_COMP_CNT: 0
; COMPUTE_PGM_RSRC3_GFX90A:ACCUM_OFFSET: 1
; COMPUTE_PGM_RSRC3_GFX90A:TG_SPLIT: 0
	.section	.text._Z6kernelI20flag_heads_and_tailsaLj256ELj3ELb1ELj100EEvPKT0_PS1_,"axG",@progbits,_Z6kernelI20flag_heads_and_tailsaLj256ELj3ELb1ELj100EEvPKT0_PS1_,comdat
	.protected	_Z6kernelI20flag_heads_and_tailsaLj256ELj3ELb1ELj100EEvPKT0_PS1_ ; -- Begin function _Z6kernelI20flag_heads_and_tailsaLj256ELj3ELb1ELj100EEvPKT0_PS1_
	.globl	_Z6kernelI20flag_heads_and_tailsaLj256ELj3ELb1ELj100EEvPKT0_PS1_
	.p2align	8
	.type	_Z6kernelI20flag_heads_and_tailsaLj256ELj3ELb1ELj100EEvPKT0_PS1_,@function
_Z6kernelI20flag_heads_and_tailsaLj256ELj3ELb1ELj100EEvPKT0_PS1_: ; @_Z6kernelI20flag_heads_and_tailsaLj256ELj3ELb1ELj100EEvPKT0_PS1_
; %bb.0:
	s_load_dwordx4 s[4:7], s[0:1], 0x0
	s_mul_i32 s8, s2, 0x300
	v_mov_b32_e32 v1, 0
	v_cmp_ne_u32_e32 vcc, 0, v0
	v_add_u32_e32 v2, -1, v0
	s_waitcnt lgkmcnt(0)
	s_add_u32 s0, s4, s8
	s_addc_u32 s1, s5, 0
	global_load_ubyte v3, v0, s[0:1] offset:256
	global_load_ubyte v4, v0, s[0:1]
	global_load_ubyte v5, v0, s[0:1] offset:512
	s_movk_i32 s0, 0xff
	v_cmp_ne_u32_e64 s[0:1], s0, v0
	s_movk_i32 s4, 0x64
	s_waitcnt vmcnt(2)
	v_lshlrev_b16_e32 v3, 8, v3
	s_waitcnt vmcnt(1)
	v_or_b32_e32 v3, v4, v3
	v_and_b32_e32 v3, 0xffff, v3
	s_waitcnt vmcnt(0)
	v_lshl_or_b32 v3, v5, 16, v3
	s_branch .LBB97_2
.LBB97_1:                               ;   in Loop: Header=BB97_2 Depth=1
	s_or_b64 exec, exec, s[2:3]
	v_cmp_eq_u16_sdwa s[2:3], v5, v3 src0_sel:BYTE_0 src1_sel:BYTE_0
	v_lshrrev_b32_e32 v7, 8, v3
	s_add_i32 s4, s4, -1
	v_cndmask_b32_e64 v5, 0, 1, s[2:3]
	v_cmp_eq_u16_sdwa s[2:3], v7, v4 src0_sel:BYTE_0 src1_sel:BYTE_0
	s_cmp_lg_u32 s4, 0
	s_waitcnt lgkmcnt(0)
	v_cndmask_b32_e64 v8, 0, 1, s[2:3]
	v_cmp_eq_u16_sdwa s[2:3], v3, v7 src0_sel:BYTE_0 src1_sel:BYTE_0
	s_barrier
	s_nop 0
	v_cndmask_b32_e64 v9, 0, 1, s[2:3]
	v_add_u16_e32 v3, v3, v9
	v_cmp_eq_u16_sdwa s[2:3], v4, v6 src0_sel:BYTE_0 src1_sel:BYTE_0
	v_add_u16_e32 v5, v3, v5
	v_add_u16_e32 v3, v7, v9
	v_cndmask_b32_e64 v10, 0, 1, s[2:3]
	v_add_u16_e32 v6, v3, v8
	v_add_u16_e32 v3, v4, v8
	;; [unrolled: 1-line block ×3, first 2 shown]
	v_lshlrev_b16_e32 v3, 8, v6
	v_and_b32_e32 v7, 0xff, v4
	v_or_b32_sdwa v3, v5, v3 dst_sel:DWORD dst_unused:UNUSED_PAD src0_sel:BYTE_0 src1_sel:DWORD
	v_lshlrev_b32_e32 v7, 16, v7
	v_or_b32_sdwa v3, v3, v7 dst_sel:DWORD dst_unused:UNUSED_PAD src0_sel:WORD_0 src1_sel:DWORD
	s_cbranch_scc0 .LBB97_6
.LBB97_2:                               ; =>This Inner Loop Header: Depth=1
	v_lshrrev_b32_e32 v4, 16, v3
	v_mov_b32_e32 v5, 0x7b
	ds_write_b8 v0, v4
	s_waitcnt lgkmcnt(0)
	s_barrier
	s_and_saveexec_b64 s[2:3], vcc
	s_cbranch_execz .LBB97_4
; %bb.3:                                ;   in Loop: Header=BB97_2 Depth=1
	ds_read_u8 v5, v2
.LBB97_4:                               ;   in Loop: Header=BB97_2 Depth=1
	s_or_b64 exec, exec, s[2:3]
	v_mov_b32_e32 v6, 0xea
	ds_write_b8 v0, v3 offset:256
	s_waitcnt lgkmcnt(0)
	s_barrier
	s_and_saveexec_b64 s[2:3], s[0:1]
	s_cbranch_execz .LBB97_1
; %bb.5:                                ;   in Loop: Header=BB97_2 Depth=1
	ds_read_u8 v6, v0 offset:257
	s_branch .LBB97_1
.LBB97_6:
	s_add_u32 s0, s6, s8
	s_addc_u32 s1, s7, 0
	v_lshl_add_u64 v[0:1], s[0:1], 0, v[0:1]
	global_store_byte v[0:1], v5, off
	global_store_byte v[0:1], v6, off offset:256
	global_store_byte v[0:1], v4, off offset:512
	s_endpgm
	.section	.rodata,"a",@progbits
	.p2align	6, 0x0
	.amdhsa_kernel _Z6kernelI20flag_heads_and_tailsaLj256ELj3ELb1ELj100EEvPKT0_PS1_
		.amdhsa_group_segment_fixed_size 512
		.amdhsa_private_segment_fixed_size 0
		.amdhsa_kernarg_size 16
		.amdhsa_user_sgpr_count 2
		.amdhsa_user_sgpr_dispatch_ptr 0
		.amdhsa_user_sgpr_queue_ptr 0
		.amdhsa_user_sgpr_kernarg_segment_ptr 1
		.amdhsa_user_sgpr_dispatch_id 0
		.amdhsa_user_sgpr_kernarg_preload_length 0
		.amdhsa_user_sgpr_kernarg_preload_offset 0
		.amdhsa_user_sgpr_private_segment_size 0
		.amdhsa_uses_dynamic_stack 0
		.amdhsa_enable_private_segment 0
		.amdhsa_system_sgpr_workgroup_id_x 1
		.amdhsa_system_sgpr_workgroup_id_y 0
		.amdhsa_system_sgpr_workgroup_id_z 0
		.amdhsa_system_sgpr_workgroup_info 0
		.amdhsa_system_vgpr_workitem_id 0
		.amdhsa_next_free_vgpr 11
		.amdhsa_next_free_sgpr 9
		.amdhsa_accum_offset 12
		.amdhsa_reserve_vcc 1
		.amdhsa_float_round_mode_32 0
		.amdhsa_float_round_mode_16_64 0
		.amdhsa_float_denorm_mode_32 3
		.amdhsa_float_denorm_mode_16_64 3
		.amdhsa_dx10_clamp 1
		.amdhsa_ieee_mode 1
		.amdhsa_fp16_overflow 0
		.amdhsa_tg_split 0
		.amdhsa_exception_fp_ieee_invalid_op 0
		.amdhsa_exception_fp_denorm_src 0
		.amdhsa_exception_fp_ieee_div_zero 0
		.amdhsa_exception_fp_ieee_overflow 0
		.amdhsa_exception_fp_ieee_underflow 0
		.amdhsa_exception_fp_ieee_inexact 0
		.amdhsa_exception_int_div_zero 0
	.end_amdhsa_kernel
	.section	.text._Z6kernelI20flag_heads_and_tailsaLj256ELj3ELb1ELj100EEvPKT0_PS1_,"axG",@progbits,_Z6kernelI20flag_heads_and_tailsaLj256ELj3ELb1ELj100EEvPKT0_PS1_,comdat
.Lfunc_end97:
	.size	_Z6kernelI20flag_heads_and_tailsaLj256ELj3ELb1ELj100EEvPKT0_PS1_, .Lfunc_end97-_Z6kernelI20flag_heads_and_tailsaLj256ELj3ELb1ELj100EEvPKT0_PS1_
                                        ; -- End function
	.section	.AMDGPU.csdata,"",@progbits
; Kernel info:
; codeLenInByte = 408
; NumSgprs: 15
; NumVgprs: 11
; NumAgprs: 0
; TotalNumVgprs: 11
; ScratchSize: 0
; MemoryBound: 0
; FloatMode: 240
; IeeeMode: 1
; LDSByteSize: 512 bytes/workgroup (compile time only)
; SGPRBlocks: 1
; VGPRBlocks: 1
; NumSGPRsForWavesPerEU: 15
; NumVGPRsForWavesPerEU: 11
; AccumOffset: 12
; Occupancy: 8
; WaveLimiterHint : 1
; COMPUTE_PGM_RSRC2:SCRATCH_EN: 0
; COMPUTE_PGM_RSRC2:USER_SGPR: 2
; COMPUTE_PGM_RSRC2:TRAP_HANDLER: 0
; COMPUTE_PGM_RSRC2:TGID_X_EN: 1
; COMPUTE_PGM_RSRC2:TGID_Y_EN: 0
; COMPUTE_PGM_RSRC2:TGID_Z_EN: 0
; COMPUTE_PGM_RSRC2:TIDIG_COMP_CNT: 0
; COMPUTE_PGM_RSRC3_GFX90A:ACCUM_OFFSET: 2
; COMPUTE_PGM_RSRC3_GFX90A:TG_SPLIT: 0
	.section	.text._Z6kernelI20flag_heads_and_tailsaLj256ELj4ELb1ELj100EEvPKT0_PS1_,"axG",@progbits,_Z6kernelI20flag_heads_and_tailsaLj256ELj4ELb1ELj100EEvPKT0_PS1_,comdat
	.protected	_Z6kernelI20flag_heads_and_tailsaLj256ELj4ELb1ELj100EEvPKT0_PS1_ ; -- Begin function _Z6kernelI20flag_heads_and_tailsaLj256ELj4ELb1ELj100EEvPKT0_PS1_
	.globl	_Z6kernelI20flag_heads_and_tailsaLj256ELj4ELb1ELj100EEvPKT0_PS1_
	.p2align	8
	.type	_Z6kernelI20flag_heads_and_tailsaLj256ELj4ELb1ELj100EEvPKT0_PS1_,@function
_Z6kernelI20flag_heads_and_tailsaLj256ELj4ELb1ELj100EEvPKT0_PS1_: ; @_Z6kernelI20flag_heads_and_tailsaLj256ELj4ELb1ELj100EEvPKT0_PS1_
; %bb.0:
	s_load_dwordx4 s[4:7], s[0:1], 0x0
	s_lshl_b32 s8, s2, 10
	v_mov_b32_e32 v1, 0
	v_cmp_ne_u32_e32 vcc, 0, v0
	v_add_u32_e32 v2, -1, v0
	s_waitcnt lgkmcnt(0)
	s_add_u32 s0, s4, s8
	s_addc_u32 s1, s5, 0
	global_load_ubyte v3, v0, s[0:1] offset:256
	global_load_ubyte v4, v0, s[0:1] offset:768
	global_load_ubyte v5, v0, s[0:1]
	global_load_ubyte v6, v0, s[0:1] offset:512
	s_movk_i32 s4, 0xff
	v_cmp_ne_u32_e64 s[0:1], s4, v0
	s_movk_i32 s5, 0x64
	s_waitcnt vmcnt(3)
	v_lshlrev_b16_e32 v3, 8, v3
	s_waitcnt vmcnt(2)
	v_lshlrev_b16_e32 v4, 8, v4
	s_waitcnt vmcnt(1)
	v_or_b32_e32 v3, v5, v3
	s_waitcnt vmcnt(0)
	v_or_b32_sdwa v4, v6, v4 dst_sel:WORD_1 dst_unused:UNUSED_PAD src0_sel:DWORD src1_sel:DWORD
	s_nop 0
	v_or_b32_sdwa v3, v3, v4 dst_sel:DWORD dst_unused:UNUSED_PAD src0_sel:WORD_0 src1_sel:DWORD
	s_branch .LBB98_2
.LBB98_1:                               ;   in Loop: Header=BB98_2 Depth=1
	s_or_b64 exec, exec, s[2:3]
	v_cmp_eq_u16_sdwa s[2:3], v5, v3 src0_sel:BYTE_0 src1_sel:BYTE_0
	v_and_b32_sdwa v8, v3, s4 dst_sel:DWORD dst_unused:UNUSED_PAD src0_sel:WORD_1 src1_sel:DWORD
	v_lshrrev_b32_e32 v7, 8, v3
	v_cndmask_b32_e64 v5, 0, 1, s[2:3]
	v_cmp_eq_u16_e64 s[2:3], v8, v4
	s_add_i32 s5, s5, -1
	s_cmp_lg_u32 s5, 0
	v_cndmask_b32_e64 v9, 0, 1, s[2:3]
	v_cmp_eq_u16_sdwa s[2:3], v7, v8 src0_sel:BYTE_0 src1_sel:DWORD
	s_waitcnt lgkmcnt(0)
	s_barrier
	v_cndmask_b32_e64 v8, 0, 1, s[2:3]
	v_cmp_eq_u16_sdwa s[2:3], v3, v7 src0_sel:BYTE_0 src1_sel:BYTE_0
	s_nop 1
	v_cndmask_b32_e64 v10, 0, 1, s[2:3]
	v_cmp_eq_u16_sdwa s[2:3], v4, v6 src0_sel:DWORD src1_sel:BYTE_0
	v_add_u16_e32 v6, v3, v10
	v_add_u16_sdwa v3, v3, v8 dst_sel:DWORD dst_unused:UNUSED_PAD src0_sel:WORD_1 src1_sel:DWORD
	v_cndmask_b32_e64 v11, 0, 1, s[2:3]
	v_add_u16_e32 v5, v6, v5
	v_add_u16_e32 v6, v7, v10
	;; [unrolled: 1-line block ×6, first 2 shown]
	v_lshlrev_b16_e32 v3, 8, v6
	v_lshlrev_b16_e32 v8, 8, v4
	v_or_b32_sdwa v3, v5, v3 dst_sel:DWORD dst_unused:UNUSED_PAD src0_sel:BYTE_0 src1_sel:DWORD
	v_or_b32_sdwa v8, v7, v8 dst_sel:WORD_1 dst_unused:UNUSED_PAD src0_sel:BYTE_0 src1_sel:DWORD
	s_nop 0
	v_or_b32_sdwa v3, v3, v8 dst_sel:DWORD dst_unused:UNUSED_PAD src0_sel:WORD_0 src1_sel:DWORD
	s_cbranch_scc0 .LBB98_6
.LBB98_2:                               ; =>This Inner Loop Header: Depth=1
	v_lshrrev_b32_e32 v4, 24, v3
	v_mov_b32_e32 v5, 0x7b
	ds_write_b8 v0, v4
	s_waitcnt lgkmcnt(0)
	s_barrier
	s_and_saveexec_b64 s[2:3], vcc
	s_cbranch_execz .LBB98_4
; %bb.3:                                ;   in Loop: Header=BB98_2 Depth=1
	ds_read_u8 v5, v2
.LBB98_4:                               ;   in Loop: Header=BB98_2 Depth=1
	s_or_b64 exec, exec, s[2:3]
	v_mov_b32_e32 v6, 0xea
	ds_write_b8 v0, v3 offset:256
	s_waitcnt lgkmcnt(0)
	s_barrier
	s_and_saveexec_b64 s[2:3], s[0:1]
	s_cbranch_execz .LBB98_1
; %bb.5:                                ;   in Loop: Header=BB98_2 Depth=1
	ds_read_u8 v6, v0 offset:257
	s_branch .LBB98_1
.LBB98_6:
	s_add_u32 s0, s6, s8
	s_addc_u32 s1, s7, 0
	v_lshl_add_u64 v[0:1], s[0:1], 0, v[0:1]
	global_store_byte v[0:1], v5, off
	global_store_byte v[0:1], v6, off offset:256
	global_store_byte v[0:1], v7, off offset:512
	;; [unrolled: 1-line block ×3, first 2 shown]
	s_endpgm
	.section	.rodata,"a",@progbits
	.p2align	6, 0x0
	.amdhsa_kernel _Z6kernelI20flag_heads_and_tailsaLj256ELj4ELb1ELj100EEvPKT0_PS1_
		.amdhsa_group_segment_fixed_size 512
		.amdhsa_private_segment_fixed_size 0
		.amdhsa_kernarg_size 16
		.amdhsa_user_sgpr_count 2
		.amdhsa_user_sgpr_dispatch_ptr 0
		.amdhsa_user_sgpr_queue_ptr 0
		.amdhsa_user_sgpr_kernarg_segment_ptr 1
		.amdhsa_user_sgpr_dispatch_id 0
		.amdhsa_user_sgpr_kernarg_preload_length 0
		.amdhsa_user_sgpr_kernarg_preload_offset 0
		.amdhsa_user_sgpr_private_segment_size 0
		.amdhsa_uses_dynamic_stack 0
		.amdhsa_enable_private_segment 0
		.amdhsa_system_sgpr_workgroup_id_x 1
		.amdhsa_system_sgpr_workgroup_id_y 0
		.amdhsa_system_sgpr_workgroup_id_z 0
		.amdhsa_system_sgpr_workgroup_info 0
		.amdhsa_system_vgpr_workitem_id 0
		.amdhsa_next_free_vgpr 12
		.amdhsa_next_free_sgpr 9
		.amdhsa_accum_offset 12
		.amdhsa_reserve_vcc 1
		.amdhsa_float_round_mode_32 0
		.amdhsa_float_round_mode_16_64 0
		.amdhsa_float_denorm_mode_32 3
		.amdhsa_float_denorm_mode_16_64 3
		.amdhsa_dx10_clamp 1
		.amdhsa_ieee_mode 1
		.amdhsa_fp16_overflow 0
		.amdhsa_tg_split 0
		.amdhsa_exception_fp_ieee_invalid_op 0
		.amdhsa_exception_fp_denorm_src 0
		.amdhsa_exception_fp_ieee_div_zero 0
		.amdhsa_exception_fp_ieee_overflow 0
		.amdhsa_exception_fp_ieee_underflow 0
		.amdhsa_exception_fp_ieee_inexact 0
		.amdhsa_exception_int_div_zero 0
	.end_amdhsa_kernel
	.section	.text._Z6kernelI20flag_heads_and_tailsaLj256ELj4ELb1ELj100EEvPKT0_PS1_,"axG",@progbits,_Z6kernelI20flag_heads_and_tailsaLj256ELj4ELb1ELj100EEvPKT0_PS1_,comdat
.Lfunc_end98:
	.size	_Z6kernelI20flag_heads_and_tailsaLj256ELj4ELb1ELj100EEvPKT0_PS1_, .Lfunc_end98-_Z6kernelI20flag_heads_and_tailsaLj256ELj4ELb1ELj100EEvPKT0_PS1_
                                        ; -- End function
	.section	.AMDGPU.csdata,"",@progbits
; Kernel info:
; codeLenInByte = 472
; NumSgprs: 15
; NumVgprs: 12
; NumAgprs: 0
; TotalNumVgprs: 12
; ScratchSize: 0
; MemoryBound: 0
; FloatMode: 240
; IeeeMode: 1
; LDSByteSize: 512 bytes/workgroup (compile time only)
; SGPRBlocks: 1
; VGPRBlocks: 1
; NumSGPRsForWavesPerEU: 15
; NumVGPRsForWavesPerEU: 12
; AccumOffset: 12
; Occupancy: 8
; WaveLimiterHint : 1
; COMPUTE_PGM_RSRC2:SCRATCH_EN: 0
; COMPUTE_PGM_RSRC2:USER_SGPR: 2
; COMPUTE_PGM_RSRC2:TRAP_HANDLER: 0
; COMPUTE_PGM_RSRC2:TGID_X_EN: 1
; COMPUTE_PGM_RSRC2:TGID_Y_EN: 0
; COMPUTE_PGM_RSRC2:TGID_Z_EN: 0
; COMPUTE_PGM_RSRC2:TIDIG_COMP_CNT: 0
; COMPUTE_PGM_RSRC3_GFX90A:ACCUM_OFFSET: 2
; COMPUTE_PGM_RSRC3_GFX90A:TG_SPLIT: 0
	.section	.text._Z6kernelI20flag_heads_and_tailsaLj256ELj8ELb1ELj100EEvPKT0_PS1_,"axG",@progbits,_Z6kernelI20flag_heads_and_tailsaLj256ELj8ELb1ELj100EEvPKT0_PS1_,comdat
	.protected	_Z6kernelI20flag_heads_and_tailsaLj256ELj8ELb1ELj100EEvPKT0_PS1_ ; -- Begin function _Z6kernelI20flag_heads_and_tailsaLj256ELj8ELb1ELj100EEvPKT0_PS1_
	.globl	_Z6kernelI20flag_heads_and_tailsaLj256ELj8ELb1ELj100EEvPKT0_PS1_
	.p2align	8
	.type	_Z6kernelI20flag_heads_and_tailsaLj256ELj8ELb1ELj100EEvPKT0_PS1_,@function
_Z6kernelI20flag_heads_and_tailsaLj256ELj8ELb1ELj100EEvPKT0_PS1_: ; @_Z6kernelI20flag_heads_and_tailsaLj256ELj8ELb1ELj100EEvPKT0_PS1_
; %bb.0:
	s_load_dwordx4 s[4:7], s[0:1], 0x0
	s_lshl_b32 s8, s2, 11
	v_mov_b32_e32 v1, 0
	v_cmp_ne_u32_e32 vcc, 0, v0
	v_add_u32_e32 v4, -1, v0
	s_waitcnt lgkmcnt(0)
	s_add_u32 s0, s4, s8
	s_addc_u32 s1, s5, 0
	global_load_ubyte v2, v0, s[0:1] offset:256
	global_load_ubyte v3, v0, s[0:1] offset:768
	;; [unrolled: 1-line block ×4, first 2 shown]
	global_load_ubyte v7, v0, s[0:1]
	global_load_ubyte v8, v0, s[0:1] offset:512
	global_load_ubyte v9, v0, s[0:1] offset:1024
	;; [unrolled: 1-line block ×3, first 2 shown]
	s_movk_i32 s4, 0xff
	v_cmp_ne_u32_e64 s[0:1], s4, v0
	s_movk_i32 s5, 0x64
	s_waitcnt vmcnt(7)
	v_lshlrev_b16_e32 v2, 8, v2
	s_waitcnt vmcnt(6)
	v_lshlrev_b16_e32 v3, 8, v3
	;; [unrolled: 2-line block ×4, first 2 shown]
	s_waitcnt vmcnt(3)
	v_or_b32_e32 v2, v7, v2
	s_waitcnt vmcnt(2)
	v_or_b32_sdwa v3, v8, v3 dst_sel:WORD_1 dst_unused:UNUSED_PAD src0_sel:DWORD src1_sel:DWORD
	s_waitcnt vmcnt(1)
	v_or_b32_e32 v5, v9, v5
	s_waitcnt vmcnt(0)
	v_or_b32_sdwa v6, v10, v6 dst_sel:WORD_1 dst_unused:UNUSED_PAD src0_sel:DWORD src1_sel:DWORD
	v_or_b32_sdwa v2, v2, v3 dst_sel:DWORD dst_unused:UNUSED_PAD src0_sel:WORD_0 src1_sel:DWORD
	v_or_b32_sdwa v3, v5, v6 dst_sel:DWORD dst_unused:UNUSED_PAD src0_sel:WORD_0 src1_sel:DWORD
	s_branch .LBB99_2
.LBB99_1:                               ;   in Loop: Header=BB99_2 Depth=1
	s_or_b64 exec, exec, s[2:3]
	v_cmp_eq_u16_sdwa s[2:3], v7, v2 src0_sel:BYTE_0 src1_sel:BYTE_0
	v_lshrrev_b64 v[10:11], 24, v[2:3]
	v_and_b32_sdwa v12, v3, s4 dst_sel:DWORD dst_unused:UNUSED_PAD src0_sel:WORD_1 src1_sel:DWORD
	v_cndmask_b32_e64 v7, 0, 1, s[2:3]
	v_lshrrev_b32_e32 v11, 8, v3
	v_cmp_eq_u16_e64 s[2:3], v12, v5
	v_and_b32_sdwa v9, v2, s4 dst_sel:DWORD dst_unused:UNUSED_PAD src0_sel:WORD_1 src1_sel:DWORD
	v_lshrrev_b32_e32 v8, 8, v2
	v_cndmask_b32_e64 v13, 0, 1, s[2:3]
	v_cmp_eq_u16_sdwa s[2:3], v11, v12 src0_sel:BYTE_0 src1_sel:DWORD
	s_add_i32 s5, s5, -1
	s_cmp_lg_u32 s5, 0
	v_cndmask_b32_e64 v12, 0, 1, s[2:3]
	v_cmp_eq_u16_sdwa s[2:3], v3, v11 src0_sel:BYTE_0 src1_sel:BYTE_0
	s_waitcnt lgkmcnt(0)
	s_barrier
	v_cndmask_b32_e64 v14, 0, 1, s[2:3]
	v_cmp_eq_u16_sdwa s[2:3], v10, v3 src0_sel:BYTE_0 src1_sel:BYTE_0
	s_nop 1
	v_cndmask_b32_e64 v15, 0, 1, s[2:3]
	v_cmp_eq_u16_sdwa s[2:3], v9, v10 src0_sel:DWORD src1_sel:BYTE_0
	s_nop 1
	v_cndmask_b32_e64 v16, 0, 1, s[2:3]
	v_cmp_eq_u16_sdwa s[2:3], v8, v9 src0_sel:BYTE_0 src1_sel:DWORD
	s_nop 1
	v_cndmask_b32_e64 v9, 0, 1, s[2:3]
	v_cmp_eq_u16_sdwa s[2:3], v2, v8 src0_sel:BYTE_0 src1_sel:BYTE_0
	s_nop 1
	v_cndmask_b32_e64 v17, 0, 1, s[2:3]
	v_cmp_eq_u16_sdwa s[2:3], v5, v6 src0_sel:DWORD src1_sel:BYTE_0
	v_add_u16_e32 v6, v2, v17
	v_add_u16_sdwa v2, v2, v9 dst_sel:DWORD dst_unused:UNUSED_PAD src0_sel:WORD_1 src1_sel:DWORD
	v_add_u16_e32 v6, v6, v7
	v_add_u16_e32 v7, v8, v17
	;; [unrolled: 1-line block ×10, first 2 shown]
	v_add_u16_sdwa v2, v3, v12 dst_sel:DWORD dst_unused:UNUSED_PAD src0_sel:WORD_1 src1_sel:DWORD
	v_cndmask_b32_e64 v18, 0, 1, s[2:3]
	v_add_u16_e32 v12, v2, v13
	v_add_u16_e32 v2, v5, v13
	;; [unrolled: 1-line block ×3, first 2 shown]
	v_lshlrev_b16_e32 v2, 8, v7
	v_lshlrev_b16_e32 v3, 8, v9
	v_or_b32_sdwa v2, v6, v2 dst_sel:DWORD dst_unused:UNUSED_PAD src0_sel:BYTE_0 src1_sel:DWORD
	v_or_b32_sdwa v3, v8, v3 dst_sel:WORD_1 dst_unused:UNUSED_PAD src0_sel:BYTE_0 src1_sel:DWORD
	v_lshlrev_b16_e32 v13, 8, v5
	v_or_b32_sdwa v2, v2, v3 dst_sel:DWORD dst_unused:UNUSED_PAD src0_sel:WORD_0 src1_sel:DWORD
	v_lshlrev_b16_e32 v3, 8, v11
	v_or_b32_sdwa v3, v10, v3 dst_sel:DWORD dst_unused:UNUSED_PAD src0_sel:BYTE_0 src1_sel:DWORD
	v_or_b32_sdwa v13, v12, v13 dst_sel:WORD_1 dst_unused:UNUSED_PAD src0_sel:BYTE_0 src1_sel:DWORD
	s_nop 0
	v_or_b32_sdwa v3, v3, v13 dst_sel:DWORD dst_unused:UNUSED_PAD src0_sel:WORD_0 src1_sel:DWORD
	s_cbranch_scc0 .LBB99_6
.LBB99_2:                               ; =>This Inner Loop Header: Depth=1
	v_lshrrev_b32_e32 v5, 24, v3
	v_mov_b32_e32 v7, 0x7b
	ds_write_b8 v0, v5
	s_waitcnt lgkmcnt(0)
	s_barrier
	s_and_saveexec_b64 s[2:3], vcc
	s_cbranch_execz .LBB99_4
; %bb.3:                                ;   in Loop: Header=BB99_2 Depth=1
	ds_read_u8 v7, v4
.LBB99_4:                               ;   in Loop: Header=BB99_2 Depth=1
	s_or_b64 exec, exec, s[2:3]
	v_mov_b32_e32 v6, 0xea
	ds_write_b8 v0, v2 offset:256
	s_waitcnt lgkmcnt(0)
	s_barrier
	s_and_saveexec_b64 s[2:3], s[0:1]
	s_cbranch_execz .LBB99_1
; %bb.5:                                ;   in Loop: Header=BB99_2 Depth=1
	ds_read_u8 v6, v0 offset:257
	s_branch .LBB99_1
.LBB99_6:
	s_add_u32 s0, s6, s8
	s_addc_u32 s1, s7, 0
	v_lshl_add_u64 v[0:1], s[0:1], 0, v[0:1]
	global_store_byte v[0:1], v6, off
	global_store_byte v[0:1], v7, off offset:256
	global_store_byte v[0:1], v8, off offset:512
	;; [unrolled: 1-line block ×7, first 2 shown]
	s_endpgm
	.section	.rodata,"a",@progbits
	.p2align	6, 0x0
	.amdhsa_kernel _Z6kernelI20flag_heads_and_tailsaLj256ELj8ELb1ELj100EEvPKT0_PS1_
		.amdhsa_group_segment_fixed_size 512
		.amdhsa_private_segment_fixed_size 0
		.amdhsa_kernarg_size 16
		.amdhsa_user_sgpr_count 2
		.amdhsa_user_sgpr_dispatch_ptr 0
		.amdhsa_user_sgpr_queue_ptr 0
		.amdhsa_user_sgpr_kernarg_segment_ptr 1
		.amdhsa_user_sgpr_dispatch_id 0
		.amdhsa_user_sgpr_kernarg_preload_length 0
		.amdhsa_user_sgpr_kernarg_preload_offset 0
		.amdhsa_user_sgpr_private_segment_size 0
		.amdhsa_uses_dynamic_stack 0
		.amdhsa_enable_private_segment 0
		.amdhsa_system_sgpr_workgroup_id_x 1
		.amdhsa_system_sgpr_workgroup_id_y 0
		.amdhsa_system_sgpr_workgroup_id_z 0
		.amdhsa_system_sgpr_workgroup_info 0
		.amdhsa_system_vgpr_workitem_id 0
		.amdhsa_next_free_vgpr 19
		.amdhsa_next_free_sgpr 9
		.amdhsa_accum_offset 20
		.amdhsa_reserve_vcc 1
		.amdhsa_float_round_mode_32 0
		.amdhsa_float_round_mode_16_64 0
		.amdhsa_float_denorm_mode_32 3
		.amdhsa_float_denorm_mode_16_64 3
		.amdhsa_dx10_clamp 1
		.amdhsa_ieee_mode 1
		.amdhsa_fp16_overflow 0
		.amdhsa_tg_split 0
		.amdhsa_exception_fp_ieee_invalid_op 0
		.amdhsa_exception_fp_denorm_src 0
		.amdhsa_exception_fp_ieee_div_zero 0
		.amdhsa_exception_fp_ieee_overflow 0
		.amdhsa_exception_fp_ieee_underflow 0
		.amdhsa_exception_fp_ieee_inexact 0
		.amdhsa_exception_int_div_zero 0
	.end_amdhsa_kernel
	.section	.text._Z6kernelI20flag_heads_and_tailsaLj256ELj8ELb1ELj100EEvPKT0_PS1_,"axG",@progbits,_Z6kernelI20flag_heads_and_tailsaLj256ELj8ELb1ELj100EEvPKT0_PS1_,comdat
.Lfunc_end99:
	.size	_Z6kernelI20flag_heads_and_tailsaLj256ELj8ELb1ELj100EEvPKT0_PS1_, .Lfunc_end99-_Z6kernelI20flag_heads_and_tailsaLj256ELj8ELb1ELj100EEvPKT0_PS1_
                                        ; -- End function
	.section	.AMDGPU.csdata,"",@progbits
; Kernel info:
; codeLenInByte = 740
; NumSgprs: 15
; NumVgprs: 19
; NumAgprs: 0
; TotalNumVgprs: 19
; ScratchSize: 0
; MemoryBound: 0
; FloatMode: 240
; IeeeMode: 1
; LDSByteSize: 512 bytes/workgroup (compile time only)
; SGPRBlocks: 1
; VGPRBlocks: 2
; NumSGPRsForWavesPerEU: 15
; NumVGPRsForWavesPerEU: 19
; AccumOffset: 20
; Occupancy: 8
; WaveLimiterHint : 1
; COMPUTE_PGM_RSRC2:SCRATCH_EN: 0
; COMPUTE_PGM_RSRC2:USER_SGPR: 2
; COMPUTE_PGM_RSRC2:TRAP_HANDLER: 0
; COMPUTE_PGM_RSRC2:TGID_X_EN: 1
; COMPUTE_PGM_RSRC2:TGID_Y_EN: 0
; COMPUTE_PGM_RSRC2:TGID_Z_EN: 0
; COMPUTE_PGM_RSRC2:TIDIG_COMP_CNT: 0
; COMPUTE_PGM_RSRC3_GFX90A:ACCUM_OFFSET: 4
; COMPUTE_PGM_RSRC3_GFX90A:TG_SPLIT: 0
	.section	.text._Z6kernelI20flag_heads_and_tailshLj256ELj1ELb0ELj100EEvPKT0_PS1_,"axG",@progbits,_Z6kernelI20flag_heads_and_tailshLj256ELj1ELb0ELj100EEvPKT0_PS1_,comdat
	.protected	_Z6kernelI20flag_heads_and_tailshLj256ELj1ELb0ELj100EEvPKT0_PS1_ ; -- Begin function _Z6kernelI20flag_heads_and_tailshLj256ELj1ELb0ELj100EEvPKT0_PS1_
	.globl	_Z6kernelI20flag_heads_and_tailshLj256ELj1ELb0ELj100EEvPKT0_PS1_
	.p2align	8
	.type	_Z6kernelI20flag_heads_and_tailshLj256ELj1ELb0ELj100EEvPKT0_PS1_,@function
_Z6kernelI20flag_heads_and_tailshLj256ELj1ELb0ELj100EEvPKT0_PS1_: ; @_Z6kernelI20flag_heads_and_tailshLj256ELj1ELb0ELj100EEvPKT0_PS1_
; %bb.0:
	s_load_dwordx4 s[4:7], s[0:1], 0x0
	s_lshl_b32 s8, s2, 8
	v_mov_b32_e32 v1, 0
	v_cmp_ne_u32_e32 vcc, 0, v0
	v_add_u32_e32 v3, -1, v0
	s_waitcnt lgkmcnt(0)
	s_add_u32 s0, s4, s8
	s_addc_u32 s1, s5, 0
	global_load_ubyte v2, v0, s[0:1]
	s_movk_i32 s0, 0xff
	v_cmp_ne_u32_e64 s[0:1], s0, v0
	s_movk_i32 s4, 0x64
	s_branch .LBB100_2
.LBB100_1:                              ;   in Loop: Header=BB100_2 Depth=1
	s_or_b64 exec, exec, s[2:3]
	v_add_u16_e32 v2, v5, v2
	s_add_i32 s4, s4, -1
	v_add_u16_e32 v2, v2, v4
	s_cmp_lg_u32 s4, 0
	s_barrier
	s_cbranch_scc0 .LBB100_6
.LBB100_2:                              ; =>This Inner Loop Header: Depth=1
	v_mov_b32_e32 v4, 1
	v_mov_b32_e32 v5, 1
	s_waitcnt vmcnt(0)
	ds_write_b8 v0, v2
	s_waitcnt lgkmcnt(0)
	s_barrier
	s_and_saveexec_b64 s[2:3], vcc
	s_cbranch_execz .LBB100_4
; %bb.3:                                ;   in Loop: Header=BB100_2 Depth=1
	ds_read_u8 v5, v3
	s_waitcnt lgkmcnt(0)
	v_cmp_eq_u16_sdwa s[10:11], v5, v2 src0_sel:DWORD src1_sel:BYTE_0
	s_nop 1
	v_cndmask_b32_e64 v5, 0, 1, s[10:11]
.LBB100_4:                              ;   in Loop: Header=BB100_2 Depth=1
	s_or_b64 exec, exec, s[2:3]
	ds_write_b8 v0, v2 offset:256
	s_waitcnt lgkmcnt(0)
	s_barrier
	s_and_saveexec_b64 s[2:3], s[0:1]
	s_cbranch_execz .LBB100_1
; %bb.5:                                ;   in Loop: Header=BB100_2 Depth=1
	ds_read_u8 v4, v0 offset:257
	s_waitcnt lgkmcnt(0)
	v_cmp_eq_u16_sdwa s[10:11], v4, v2 src0_sel:DWORD src1_sel:BYTE_0
	s_nop 1
	v_cndmask_b32_e64 v4, 0, 1, s[10:11]
	s_branch .LBB100_1
.LBB100_6:
	s_add_u32 s0, s6, s8
	s_addc_u32 s1, s7, 0
	v_lshl_add_u64 v[0:1], s[0:1], 0, v[0:1]
	global_store_byte v[0:1], v2, off
	s_endpgm
	.section	.rodata,"a",@progbits
	.p2align	6, 0x0
	.amdhsa_kernel _Z6kernelI20flag_heads_and_tailshLj256ELj1ELb0ELj100EEvPKT0_PS1_
		.amdhsa_group_segment_fixed_size 512
		.amdhsa_private_segment_fixed_size 0
		.amdhsa_kernarg_size 16
		.amdhsa_user_sgpr_count 2
		.amdhsa_user_sgpr_dispatch_ptr 0
		.amdhsa_user_sgpr_queue_ptr 0
		.amdhsa_user_sgpr_kernarg_segment_ptr 1
		.amdhsa_user_sgpr_dispatch_id 0
		.amdhsa_user_sgpr_kernarg_preload_length 0
		.amdhsa_user_sgpr_kernarg_preload_offset 0
		.amdhsa_user_sgpr_private_segment_size 0
		.amdhsa_uses_dynamic_stack 0
		.amdhsa_enable_private_segment 0
		.amdhsa_system_sgpr_workgroup_id_x 1
		.amdhsa_system_sgpr_workgroup_id_y 0
		.amdhsa_system_sgpr_workgroup_id_z 0
		.amdhsa_system_sgpr_workgroup_info 0
		.amdhsa_system_vgpr_workitem_id 0
		.amdhsa_next_free_vgpr 6
		.amdhsa_next_free_sgpr 12
		.amdhsa_accum_offset 8
		.amdhsa_reserve_vcc 1
		.amdhsa_float_round_mode_32 0
		.amdhsa_float_round_mode_16_64 0
		.amdhsa_float_denorm_mode_32 3
		.amdhsa_float_denorm_mode_16_64 3
		.amdhsa_dx10_clamp 1
		.amdhsa_ieee_mode 1
		.amdhsa_fp16_overflow 0
		.amdhsa_tg_split 0
		.amdhsa_exception_fp_ieee_invalid_op 0
		.amdhsa_exception_fp_denorm_src 0
		.amdhsa_exception_fp_ieee_div_zero 0
		.amdhsa_exception_fp_ieee_overflow 0
		.amdhsa_exception_fp_ieee_underflow 0
		.amdhsa_exception_fp_ieee_inexact 0
		.amdhsa_exception_int_div_zero 0
	.end_amdhsa_kernel
	.section	.text._Z6kernelI20flag_heads_and_tailshLj256ELj1ELb0ELj100EEvPKT0_PS1_,"axG",@progbits,_Z6kernelI20flag_heads_and_tailshLj256ELj1ELb0ELj100EEvPKT0_PS1_,comdat
.Lfunc_end100:
	.size	_Z6kernelI20flag_heads_and_tailshLj256ELj1ELb0ELj100EEvPKT0_PS1_, .Lfunc_end100-_Z6kernelI20flag_heads_and_tailshLj256ELj1ELb0ELj100EEvPKT0_PS1_
                                        ; -- End function
	.section	.AMDGPU.csdata,"",@progbits
; Kernel info:
; codeLenInByte = 252
; NumSgprs: 18
; NumVgprs: 6
; NumAgprs: 0
; TotalNumVgprs: 6
; ScratchSize: 0
; MemoryBound: 0
; FloatMode: 240
; IeeeMode: 1
; LDSByteSize: 512 bytes/workgroup (compile time only)
; SGPRBlocks: 2
; VGPRBlocks: 0
; NumSGPRsForWavesPerEU: 18
; NumVGPRsForWavesPerEU: 6
; AccumOffset: 8
; Occupancy: 8
; WaveLimiterHint : 0
; COMPUTE_PGM_RSRC2:SCRATCH_EN: 0
; COMPUTE_PGM_RSRC2:USER_SGPR: 2
; COMPUTE_PGM_RSRC2:TRAP_HANDLER: 0
; COMPUTE_PGM_RSRC2:TGID_X_EN: 1
; COMPUTE_PGM_RSRC2:TGID_Y_EN: 0
; COMPUTE_PGM_RSRC2:TGID_Z_EN: 0
; COMPUTE_PGM_RSRC2:TIDIG_COMP_CNT: 0
; COMPUTE_PGM_RSRC3_GFX90A:ACCUM_OFFSET: 1
; COMPUTE_PGM_RSRC3_GFX90A:TG_SPLIT: 0
	.section	.text._Z6kernelI20flag_heads_and_tailshLj256ELj2ELb0ELj100EEvPKT0_PS1_,"axG",@progbits,_Z6kernelI20flag_heads_and_tailshLj256ELj2ELb0ELj100EEvPKT0_PS1_,comdat
	.protected	_Z6kernelI20flag_heads_and_tailshLj256ELj2ELb0ELj100EEvPKT0_PS1_ ; -- Begin function _Z6kernelI20flag_heads_and_tailshLj256ELj2ELb0ELj100EEvPKT0_PS1_
	.globl	_Z6kernelI20flag_heads_and_tailshLj256ELj2ELb0ELj100EEvPKT0_PS1_
	.p2align	8
	.type	_Z6kernelI20flag_heads_and_tailshLj256ELj2ELb0ELj100EEvPKT0_PS1_,@function
_Z6kernelI20flag_heads_and_tailshLj256ELj2ELb0ELj100EEvPKT0_PS1_: ; @_Z6kernelI20flag_heads_and_tailshLj256ELj2ELb0ELj100EEvPKT0_PS1_
; %bb.0:
	s_load_dwordx4 s[4:7], s[0:1], 0x0
	s_lshl_b32 s8, s2, 9
	v_mov_b32_e32 v1, 0
	v_cmp_ne_u32_e32 vcc, 0, v0
	v_add_u32_e32 v2, -1, v0
	s_waitcnt lgkmcnt(0)
	s_add_u32 s0, s4, s8
	s_addc_u32 s1, s5, 0
	global_load_ubyte v3, v0, s[0:1] offset:256
	global_load_ubyte v4, v0, s[0:1]
	s_movk_i32 s0, 0xff
	v_cmp_ne_u32_e64 s[0:1], s0, v0
	s_movk_i32 s9, 0x64
	s_waitcnt vmcnt(1)
	v_lshlrev_b16_e32 v3, 8, v3
	s_waitcnt vmcnt(0)
	v_or_b32_e32 v3, v4, v3
	v_and_b32_e32 v3, 0xffff, v3
	s_branch .LBB101_2
.LBB101_1:                              ;   in Loop: Header=BB101_2 Depth=1
	s_or_b64 exec, exec, s[4:5]
	v_add_u16_e32 v3, v5, v3
	v_add_u16_e32 v6, v3, v7
	v_add_u16_sdwa v3, v5, v4 dst_sel:DWORD dst_unused:UNUSED_PAD src0_sel:BYTE_1 src1_sel:DWORD
	v_add_u16_sdwa v4, v3, v7 dst_sel:DWORD dst_unused:UNUSED_PAD src0_sel:DWORD src1_sel:BYTE_1
	v_lshlrev_b16_e32 v3, 8, v4
	v_or_b32_sdwa v3, v6, v3 dst_sel:DWORD dst_unused:UNUSED_PAD src0_sel:BYTE_0 src1_sel:DWORD
	s_add_i32 s9, s9, -1
	v_and_b32_e32 v3, 0xffff, v3
	s_cmp_lg_u32 s9, 0
	s_barrier
	s_cbranch_scc0 .LBB101_6
.LBB101_2:                              ; =>This Inner Loop Header: Depth=1
	v_lshrrev_b16_e32 v4, 8, v3
	v_cmp_eq_u16_sdwa s[2:3], v3, v4 src0_sel:BYTE_0 src1_sel:DWORD
	ds_write_b8 v0, v4
	s_waitcnt lgkmcnt(0)
	v_cndmask_b32_e64 v6, 0, 1, s[2:3]
	v_lshlrev_b16_e32 v5, 8, v6
	v_or_b32_e32 v5, 1, v5
	v_and_b32_e32 v5, 0xffff, v5
	s_barrier
	s_and_saveexec_b64 s[2:3], vcc
	s_cbranch_execz .LBB101_4
; %bb.3:                                ;   in Loop: Header=BB101_2 Depth=1
	ds_read_u8 v7, v2
	v_and_b32_e32 v5, 0x100, v5
	s_waitcnt lgkmcnt(0)
	v_cmp_eq_u16_sdwa s[4:5], v7, v3 src0_sel:DWORD src1_sel:BYTE_0
	s_nop 1
	v_cndmask_b32_e64 v7, 0, 1, s[4:5]
	v_or_b32_e32 v5, v7, v5
	v_and_b32_e32 v5, 0xffff, v5
.LBB101_4:                              ;   in Loop: Header=BB101_2 Depth=1
	s_or_b64 exec, exec, s[2:3]
	v_or_b32_e32 v6, 0x100, v6
	v_and_b32_e32 v7, 0xffff, v6
	ds_write_b8 v0, v3 offset:256
	s_waitcnt lgkmcnt(0)
	s_barrier
	s_and_saveexec_b64 s[4:5], s[0:1]
	s_cbranch_execz .LBB101_1
; %bb.5:                                ;   in Loop: Header=BB101_2 Depth=1
	ds_read_u8 v6, v0 offset:257
	s_waitcnt lgkmcnt(0)
	v_cmp_eq_u16_e64 s[2:3], v6, v4
	s_nop 1
	v_cndmask_b32_e64 v6, 0, 1, s[2:3]
	v_lshlrev_b16_e32 v6, 8, v6
	v_or_b32_sdwa v6, v7, v6 dst_sel:DWORD dst_unused:UNUSED_PAD src0_sel:BYTE_0 src1_sel:DWORD
	v_and_b32_e32 v7, 0xffff, v6
	s_branch .LBB101_1
.LBB101_6:
	s_add_u32 s0, s6, s8
	s_addc_u32 s1, s7, 0
	v_lshl_add_u64 v[0:1], s[0:1], 0, v[0:1]
	global_store_byte v[0:1], v6, off
	global_store_byte v[0:1], v4, off offset:256
	s_endpgm
	.section	.rodata,"a",@progbits
	.p2align	6, 0x0
	.amdhsa_kernel _Z6kernelI20flag_heads_and_tailshLj256ELj2ELb0ELj100EEvPKT0_PS1_
		.amdhsa_group_segment_fixed_size 512
		.amdhsa_private_segment_fixed_size 0
		.amdhsa_kernarg_size 16
		.amdhsa_user_sgpr_count 2
		.amdhsa_user_sgpr_dispatch_ptr 0
		.amdhsa_user_sgpr_queue_ptr 0
		.amdhsa_user_sgpr_kernarg_segment_ptr 1
		.amdhsa_user_sgpr_dispatch_id 0
		.amdhsa_user_sgpr_kernarg_preload_length 0
		.amdhsa_user_sgpr_kernarg_preload_offset 0
		.amdhsa_user_sgpr_private_segment_size 0
		.amdhsa_uses_dynamic_stack 0
		.amdhsa_enable_private_segment 0
		.amdhsa_system_sgpr_workgroup_id_x 1
		.amdhsa_system_sgpr_workgroup_id_y 0
		.amdhsa_system_sgpr_workgroup_id_z 0
		.amdhsa_system_sgpr_workgroup_info 0
		.amdhsa_system_vgpr_workitem_id 0
		.amdhsa_next_free_vgpr 8
		.amdhsa_next_free_sgpr 10
		.amdhsa_accum_offset 8
		.amdhsa_reserve_vcc 1
		.amdhsa_float_round_mode_32 0
		.amdhsa_float_round_mode_16_64 0
		.amdhsa_float_denorm_mode_32 3
		.amdhsa_float_denorm_mode_16_64 3
		.amdhsa_dx10_clamp 1
		.amdhsa_ieee_mode 1
		.amdhsa_fp16_overflow 0
		.amdhsa_tg_split 0
		.amdhsa_exception_fp_ieee_invalid_op 0
		.amdhsa_exception_fp_denorm_src 0
		.amdhsa_exception_fp_ieee_div_zero 0
		.amdhsa_exception_fp_ieee_overflow 0
		.amdhsa_exception_fp_ieee_underflow 0
		.amdhsa_exception_fp_ieee_inexact 0
		.amdhsa_exception_int_div_zero 0
	.end_amdhsa_kernel
	.section	.text._Z6kernelI20flag_heads_and_tailshLj256ELj2ELb0ELj100EEvPKT0_PS1_,"axG",@progbits,_Z6kernelI20flag_heads_and_tailshLj256ELj2ELb0ELj100EEvPKT0_PS1_,comdat
.Lfunc_end101:
	.size	_Z6kernelI20flag_heads_and_tailshLj256ELj2ELb0ELj100EEvPKT0_PS1_, .Lfunc_end101-_Z6kernelI20flag_heads_and_tailshLj256ELj2ELb0ELj100EEvPKT0_PS1_
                                        ; -- End function
	.section	.AMDGPU.csdata,"",@progbits
; Kernel info:
; codeLenInByte = 408
; NumSgprs: 16
; NumVgprs: 8
; NumAgprs: 0
; TotalNumVgprs: 8
; ScratchSize: 0
; MemoryBound: 0
; FloatMode: 240
; IeeeMode: 1
; LDSByteSize: 512 bytes/workgroup (compile time only)
; SGPRBlocks: 1
; VGPRBlocks: 0
; NumSGPRsForWavesPerEU: 16
; NumVGPRsForWavesPerEU: 8
; AccumOffset: 8
; Occupancy: 8
; WaveLimiterHint : 1
; COMPUTE_PGM_RSRC2:SCRATCH_EN: 0
; COMPUTE_PGM_RSRC2:USER_SGPR: 2
; COMPUTE_PGM_RSRC2:TRAP_HANDLER: 0
; COMPUTE_PGM_RSRC2:TGID_X_EN: 1
; COMPUTE_PGM_RSRC2:TGID_Y_EN: 0
; COMPUTE_PGM_RSRC2:TGID_Z_EN: 0
; COMPUTE_PGM_RSRC2:TIDIG_COMP_CNT: 0
; COMPUTE_PGM_RSRC3_GFX90A:ACCUM_OFFSET: 1
; COMPUTE_PGM_RSRC3_GFX90A:TG_SPLIT: 0
	.section	.text._Z6kernelI20flag_heads_and_tailshLj256ELj3ELb0ELj100EEvPKT0_PS1_,"axG",@progbits,_Z6kernelI20flag_heads_and_tailshLj256ELj3ELb0ELj100EEvPKT0_PS1_,comdat
	.protected	_Z6kernelI20flag_heads_and_tailshLj256ELj3ELb0ELj100EEvPKT0_PS1_ ; -- Begin function _Z6kernelI20flag_heads_and_tailshLj256ELj3ELb0ELj100EEvPKT0_PS1_
	.globl	_Z6kernelI20flag_heads_and_tailshLj256ELj3ELb0ELj100EEvPKT0_PS1_
	.p2align	8
	.type	_Z6kernelI20flag_heads_and_tailshLj256ELj3ELb0ELj100EEvPKT0_PS1_,@function
_Z6kernelI20flag_heads_and_tailshLj256ELj3ELb0ELj100EEvPKT0_PS1_: ; @_Z6kernelI20flag_heads_and_tailshLj256ELj3ELb0ELj100EEvPKT0_PS1_
; %bb.0:
	s_load_dwordx4 s[4:7], s[0:1], 0x0
	s_mul_i32 s8, s2, 0x300
	v_mov_b32_e32 v1, 0
	v_cmp_ne_u32_e32 vcc, 0, v0
	v_add_u32_e32 v2, -1, v0
	s_waitcnt lgkmcnt(0)
	s_add_u32 s0, s4, s8
	s_addc_u32 s1, s5, 0
	global_load_ubyte v3, v0, s[0:1] offset:256
	global_load_ubyte v4, v0, s[0:1]
	global_load_ubyte v5, v0, s[0:1] offset:512
	s_movk_i32 s0, 0xff
	s_movk_i32 s4, 0x64
	s_mov_b32 s5, 0x10000
	v_cmp_ne_u32_e64 s[0:1], s0, v0
	s_waitcnt vmcnt(2)
	v_lshlrev_b16_e32 v3, 8, v3
	s_waitcnt vmcnt(1)
	v_or_b32_e32 v3, v4, v3
	v_and_b32_e32 v3, 0xffff, v3
	s_waitcnt vmcnt(0)
	v_lshl_or_b32 v4, v5, 16, v3
	v_mov_b32_e32 v3, 8
	s_branch .LBB102_2
.LBB102_1:                              ;   in Loop: Header=BB102_2 Depth=1
	s_or_b64 exec, exec, s[2:3]
	v_add_u16_e32 v4, v7, v4
	v_add_u16_e32 v8, v4, v9
	v_lshrrev_b32_e32 v4, 8, v7
	v_add_u16_e32 v4, v4, v6
	v_lshrrev_b32_e32 v6, 8, v9
	v_add_u16_e32 v6, v4, v6
	v_add_u16_sdwa v4, v7, v5 dst_sel:DWORD dst_unused:UNUSED_PAD src0_sel:WORD_1 src1_sel:DWORD
	v_add_u16_sdwa v5, v4, v9 dst_sel:DWORD dst_unused:UNUSED_PAD src0_sel:DWORD src1_sel:WORD_1
	v_lshlrev_b16_e32 v4, 8, v6
	v_and_b32_e32 v7, 0xff, v5
	v_or_b32_sdwa v4, v8, v4 dst_sel:DWORD dst_unused:UNUSED_PAD src0_sel:BYTE_0 src1_sel:DWORD
	v_lshlrev_b32_e32 v7, 16, v7
	s_add_i32 s4, s4, -1
	v_or_b32_sdwa v4, v4, v7 dst_sel:DWORD dst_unused:UNUSED_PAD src0_sel:WORD_0 src1_sel:DWORD
	s_cmp_lg_u32 s4, 0
	s_barrier
	s_cbranch_scc0 .LBB102_6
.LBB102_2:                              ; =>This Inner Loop Header: Depth=1
	v_lshrrev_b32_e32 v5, 16, v4
	v_lshrrev_b32_e32 v6, 8, v4
	v_cmp_eq_u16_sdwa s[2:3], v6, v5 src0_sel:BYTE_0 src1_sel:BYTE_0
	ds_write_b8 v0, v5
	s_waitcnt lgkmcnt(0)
	v_cndmask_b32_e64 v8, 0, 1, s[2:3]
	v_cmp_eq_u16_sdwa s[2:3], v4, v6 src0_sel:BYTE_0 src1_sel:BYTE_0
	s_barrier
	s_nop 0
	v_cndmask_b32_e64 v9, 0, 1, s[2:3]
	v_lshlrev_b16_e32 v7, 8, v9
	v_or_b32_e32 v7, 1, v7
	v_and_b32_e32 v7, 0xffff, v7
	v_lshl_or_b32 v7, v8, 16, v7
	s_and_saveexec_b64 s[2:3], vcc
	s_cbranch_execz .LBB102_4
; %bb.3:                                ;   in Loop: Header=BB102_2 Depth=1
	ds_read_u8 v10, v2
	v_lshrrev_b32_sdwa v11, v3, v7 dst_sel:BYTE_1 dst_unused:UNUSED_PAD src0_sel:DWORD src1_sel:DWORD
	s_waitcnt lgkmcnt(0)
	v_cmp_eq_u16_sdwa s[10:11], v10, v4 src0_sel:DWORD src1_sel:BYTE_0
	s_nop 1
	v_cndmask_b32_e64 v10, 0, 1, s[10:11]
	v_or_b32_e32 v10, v10, v11
	v_and_b32_e32 v10, 0xffff, v10
	v_and_or_b32 v7, v7, s5, v10
.LBB102_4:                              ;   in Loop: Header=BB102_2 Depth=1
	s_or_b64 exec, exec, s[2:3]
	v_lshlrev_b16_e32 v8, 8, v8
	v_or_b32_e32 v8, v9, v8
	v_or_b32_sdwa v9, v8, s5 dst_sel:DWORD dst_unused:UNUSED_PAD src0_sel:WORD_0 src1_sel:DWORD
	ds_write_b8 v0, v4 offset:256
	s_waitcnt lgkmcnt(0)
	s_barrier
	s_and_saveexec_b64 s[2:3], s[0:1]
	s_cbranch_execz .LBB102_1
; %bb.5:                                ;   in Loop: Header=BB102_2 Depth=1
	ds_read_u8 v8, v0 offset:257
	v_lshrrev_b32_sdwa v10, v3, v9 dst_sel:BYTE_1 dst_unused:UNUSED_PAD src0_sel:DWORD src1_sel:DWORD
	s_waitcnt lgkmcnt(0)
	v_cmp_eq_u16_sdwa s[10:11], v5, v8 src0_sel:BYTE_0 src1_sel:DWORD
	v_or_b32_sdwa v9, v9, v10 dst_sel:DWORD dst_unused:UNUSED_PAD src0_sel:BYTE_0 src1_sel:DWORD
	v_and_b32_e32 v9, 0xffff, v9
	v_cndmask_b32_e64 v8, 0, 1, s[10:11]
	v_lshl_or_b32 v9, v8, 16, v9
	s_branch .LBB102_1
.LBB102_6:
	s_add_u32 s0, s6, s8
	s_addc_u32 s1, s7, 0
	v_lshl_add_u64 v[0:1], s[0:1], 0, v[0:1]
	global_store_byte v[0:1], v8, off
	global_store_byte v[0:1], v6, off offset:256
	global_store_byte v[0:1], v5, off offset:512
	s_endpgm
	.section	.rodata,"a",@progbits
	.p2align	6, 0x0
	.amdhsa_kernel _Z6kernelI20flag_heads_and_tailshLj256ELj3ELb0ELj100EEvPKT0_PS1_
		.amdhsa_group_segment_fixed_size 512
		.amdhsa_private_segment_fixed_size 0
		.amdhsa_kernarg_size 16
		.amdhsa_user_sgpr_count 2
		.amdhsa_user_sgpr_dispatch_ptr 0
		.amdhsa_user_sgpr_queue_ptr 0
		.amdhsa_user_sgpr_kernarg_segment_ptr 1
		.amdhsa_user_sgpr_dispatch_id 0
		.amdhsa_user_sgpr_kernarg_preload_length 0
		.amdhsa_user_sgpr_kernarg_preload_offset 0
		.amdhsa_user_sgpr_private_segment_size 0
		.amdhsa_uses_dynamic_stack 0
		.amdhsa_enable_private_segment 0
		.amdhsa_system_sgpr_workgroup_id_x 1
		.amdhsa_system_sgpr_workgroup_id_y 0
		.amdhsa_system_sgpr_workgroup_id_z 0
		.amdhsa_system_sgpr_workgroup_info 0
		.amdhsa_system_vgpr_workitem_id 0
		.amdhsa_next_free_vgpr 12
		.amdhsa_next_free_sgpr 12
		.amdhsa_accum_offset 12
		.amdhsa_reserve_vcc 1
		.amdhsa_float_round_mode_32 0
		.amdhsa_float_round_mode_16_64 0
		.amdhsa_float_denorm_mode_32 3
		.amdhsa_float_denorm_mode_16_64 3
		.amdhsa_dx10_clamp 1
		.amdhsa_ieee_mode 1
		.amdhsa_fp16_overflow 0
		.amdhsa_tg_split 0
		.amdhsa_exception_fp_ieee_invalid_op 0
		.amdhsa_exception_fp_denorm_src 0
		.amdhsa_exception_fp_ieee_div_zero 0
		.amdhsa_exception_fp_ieee_overflow 0
		.amdhsa_exception_fp_ieee_underflow 0
		.amdhsa_exception_fp_ieee_inexact 0
		.amdhsa_exception_int_div_zero 0
	.end_amdhsa_kernel
	.section	.text._Z6kernelI20flag_heads_and_tailshLj256ELj3ELb0ELj100EEvPKT0_PS1_,"axG",@progbits,_Z6kernelI20flag_heads_and_tailshLj256ELj3ELb0ELj100EEvPKT0_PS1_,comdat
.Lfunc_end102:
	.size	_Z6kernelI20flag_heads_and_tailshLj256ELj3ELb0ELj100EEvPKT0_PS1_, .Lfunc_end102-_Z6kernelI20flag_heads_and_tailshLj256ELj3ELb0ELj100EEvPKT0_PS1_
                                        ; -- End function
	.section	.AMDGPU.csdata,"",@progbits
; Kernel info:
; codeLenInByte = 528
; NumSgprs: 18
; NumVgprs: 12
; NumAgprs: 0
; TotalNumVgprs: 12
; ScratchSize: 0
; MemoryBound: 0
; FloatMode: 240
; IeeeMode: 1
; LDSByteSize: 512 bytes/workgroup (compile time only)
; SGPRBlocks: 2
; VGPRBlocks: 1
; NumSGPRsForWavesPerEU: 18
; NumVGPRsForWavesPerEU: 12
; AccumOffset: 12
; Occupancy: 8
; WaveLimiterHint : 1
; COMPUTE_PGM_RSRC2:SCRATCH_EN: 0
; COMPUTE_PGM_RSRC2:USER_SGPR: 2
; COMPUTE_PGM_RSRC2:TRAP_HANDLER: 0
; COMPUTE_PGM_RSRC2:TGID_X_EN: 1
; COMPUTE_PGM_RSRC2:TGID_Y_EN: 0
; COMPUTE_PGM_RSRC2:TGID_Z_EN: 0
; COMPUTE_PGM_RSRC2:TIDIG_COMP_CNT: 0
; COMPUTE_PGM_RSRC3_GFX90A:ACCUM_OFFSET: 2
; COMPUTE_PGM_RSRC3_GFX90A:TG_SPLIT: 0
	.section	.text._Z6kernelI20flag_heads_and_tailshLj256ELj4ELb0ELj100EEvPKT0_PS1_,"axG",@progbits,_Z6kernelI20flag_heads_and_tailshLj256ELj4ELb0ELj100EEvPKT0_PS1_,comdat
	.protected	_Z6kernelI20flag_heads_and_tailshLj256ELj4ELb0ELj100EEvPKT0_PS1_ ; -- Begin function _Z6kernelI20flag_heads_and_tailshLj256ELj4ELb0ELj100EEvPKT0_PS1_
	.globl	_Z6kernelI20flag_heads_and_tailshLj256ELj4ELb0ELj100EEvPKT0_PS1_
	.p2align	8
	.type	_Z6kernelI20flag_heads_and_tailshLj256ELj4ELb0ELj100EEvPKT0_PS1_,@function
_Z6kernelI20flag_heads_and_tailshLj256ELj4ELb0ELj100EEvPKT0_PS1_: ; @_Z6kernelI20flag_heads_and_tailshLj256ELj4ELb0ELj100EEvPKT0_PS1_
; %bb.0:
	s_load_dwordx4 s[4:7], s[0:1], 0x0
	s_lshl_b32 s8, s2, 10
	s_movk_i32 s10, 0xff
	v_mov_b32_e32 v1, 0
	s_mov_b32 s9, 0xffff
	s_waitcnt lgkmcnt(0)
	s_add_u32 s0, s4, s8
	s_addc_u32 s1, s5, 0
	global_load_ubyte v3, v0, s[0:1] offset:256
	global_load_ubyte v4, v0, s[0:1] offset:768
	global_load_ubyte v5, v0, s[0:1]
	global_load_ubyte v6, v0, s[0:1] offset:512
	s_movk_i32 s11, 0x64
	s_mov_b32 s12, 0x1ff0000
	v_cmp_ne_u32_e32 vcc, 0, v0
	v_cmp_ne_u32_e64 s[0:1], s10, v0
	v_add_u32_e32 v2, -1, v0
	s_movk_i32 s13, 0x100
	s_waitcnt vmcnt(3)
	v_lshlrev_b16_e32 v3, 8, v3
	s_waitcnt vmcnt(2)
	v_lshlrev_b16_e32 v4, 8, v4
	s_waitcnt vmcnt(1)
	v_or_b32_e32 v3, v5, v3
	s_waitcnt vmcnt(0)
	v_or_b32_sdwa v4, v6, v4 dst_sel:WORD_1 dst_unused:UNUSED_PAD src0_sel:DWORD src1_sel:DWORD
	s_nop 0
	v_or_b32_sdwa v3, v3, v4 dst_sel:DWORD dst_unused:UNUSED_PAD src0_sel:WORD_0 src1_sel:DWORD
	s_branch .LBB103_2
.LBB103_1:                              ;   in Loop: Header=BB103_2 Depth=1
	s_or_b64 exec, exec, s[4:5]
	v_lshrrev_b32_e32 v9, 16, v6
	v_add_u16_e32 v7, v6, v3
	v_lshrrev_b32_e32 v10, 8, v6
	v_add_u16_sdwa v3, v9, v3 dst_sel:DWORD dst_unused:UNUSED_PAD src0_sel:DWORD src1_sel:WORD_1
	v_add_u16_e32 v5, v10, v5
	v_lshrrev_b32_e32 v10, 8, v8
	v_add_u16_sdwa v9, v3, v8 dst_sel:DWORD dst_unused:UNUSED_PAD src0_sel:DWORD src1_sel:WORD_1
	v_add_u16_sdwa v3, v6, v4 dst_sel:DWORD dst_unused:UNUSED_PAD src0_sel:BYTE_3 src1_sel:DWORD
	v_add_u16_e32 v5, v5, v10
	v_add_u16_sdwa v4, v3, v8 dst_sel:DWORD dst_unused:UNUSED_PAD src0_sel:DWORD src1_sel:BYTE_3
	v_add_u16_e32 v7, v7, v8
	v_lshlrev_b16_e32 v3, 8, v4
	v_lshlrev_b16_e32 v6, 8, v5
	v_or_b32_sdwa v3, v9, v3 dst_sel:WORD_1 dst_unused:UNUSED_PAD src0_sel:BYTE_0 src1_sel:DWORD
	v_or_b32_sdwa v6, v7, v6 dst_sel:DWORD dst_unused:UNUSED_PAD src0_sel:BYTE_0 src1_sel:DWORD
	s_add_i32 s11, s11, -1
	v_or_b32_sdwa v3, v6, v3 dst_sel:DWORD dst_unused:UNUSED_PAD src0_sel:WORD_0 src1_sel:DWORD
	s_cmp_lg_u32 s11, 0
	s_barrier
	s_cbranch_scc0 .LBB103_6
.LBB103_2:                              ; =>This Inner Loop Header: Depth=1
	v_and_b32_sdwa v6, v3, s10 dst_sel:DWORD dst_unused:UNUSED_PAD src0_sel:WORD_1 src1_sel:DWORD
	v_lshrrev_b32_e32 v4, 24, v3
	v_lshrrev_b32_e32 v5, 8, v3
	v_cmp_eq_u16_e64 s[2:3], v6, v4
	ds_write_b8 v0, v4
	s_waitcnt lgkmcnt(0)
	v_cndmask_b32_e64 v7, 0, 1, s[2:3]
	v_cmp_eq_u16_sdwa s[2:3], v5, v6 src0_sel:BYTE_0 src1_sel:DWORD
	v_lshlrev_b16_e32 v6, 8, v7
	s_barrier
	v_cndmask_b32_e64 v8, 0, 1, s[2:3]
	v_cmp_eq_u16_sdwa s[2:3], v3, v5 src0_sel:BYTE_0 src1_sel:BYTE_0
	v_or_b32_sdwa v6, v8, v6 dst_sel:WORD_1 dst_unused:UNUSED_PAD src0_sel:DWORD src1_sel:DWORD
	s_nop 0
	v_cndmask_b32_e64 v9, 0, 1, s[2:3]
	v_lshlrev_b16_e32 v10, 8, v9
	v_or_b32_e32 v10, 1, v10
	v_or_b32_sdwa v6, v10, v6 dst_sel:DWORD dst_unused:UNUSED_PAD src0_sel:WORD_0 src1_sel:DWORD
	s_and_saveexec_b64 s[2:3], vcc
	s_cbranch_execz .LBB103_4
; %bb.3:                                ;   in Loop: Header=BB103_2 Depth=1
	ds_read_u8 v10, v2
	v_and_b32_e32 v11, 0xffffff00, v6
	s_waitcnt lgkmcnt(0)
	v_cmp_eq_u16_sdwa s[4:5], v10, v3 src0_sel:DWORD src1_sel:BYTE_0
	s_nop 1
	v_cndmask_b32_e64 v10, 0, 1, s[4:5]
	v_or_b32_e32 v10, v10, v11
	v_and_b32_e32 v10, 0xffff, v10
	v_and_or_b32 v6, v6, s12, v10
.LBB103_4:                              ;   in Loop: Header=BB103_2 Depth=1
	s_or_b64 exec, exec, s[2:3]
	v_lshlrev_b16_e32 v8, 8, v8
	v_or_b32_e32 v8, v9, v8
	v_or_b32_sdwa v7, v7, s13 dst_sel:WORD_1 dst_unused:UNUSED_PAD src0_sel:DWORD src1_sel:DWORD
	ds_write_b8 v0, v3 offset:256
	v_or_b32_sdwa v8, v8, v7 dst_sel:DWORD dst_unused:UNUSED_PAD src0_sel:WORD_0 src1_sel:DWORD
	s_waitcnt lgkmcnt(0)
	s_barrier
	s_and_saveexec_b64 s[4:5], s[0:1]
	s_cbranch_execz .LBB103_1
; %bb.5:                                ;   in Loop: Header=BB103_2 Depth=1
	ds_read_u8 v7, v0 offset:257
	v_and_b32_sdwa v9, v8, s10 dst_sel:DWORD dst_unused:UNUSED_PAD src0_sel:WORD_1 src1_sel:DWORD
	s_waitcnt lgkmcnt(0)
	v_cmp_eq_u16_e64 s[2:3], v4, v7
	s_nop 1
	v_cndmask_b32_e64 v7, 0, 1, s[2:3]
	v_lshlrev_b16_e32 v7, 8, v7
	v_or_b32_sdwa v7, v9, v7 dst_sel:WORD_1 dst_unused:UNUSED_PAD src0_sel:DWORD src1_sel:DWORD
	s_nop 0
	v_and_or_b32 v8, v8, s9, v7
	s_branch .LBB103_1
.LBB103_6:
	s_add_u32 s0, s6, s8
	s_addc_u32 s1, s7, 0
	v_lshl_add_u64 v[0:1], s[0:1], 0, v[0:1]
	global_store_byte v[0:1], v7, off
	global_store_byte v[0:1], v5, off offset:256
	global_store_byte v[0:1], v9, off offset:512
	;; [unrolled: 1-line block ×3, first 2 shown]
	s_endpgm
	.section	.rodata,"a",@progbits
	.p2align	6, 0x0
	.amdhsa_kernel _Z6kernelI20flag_heads_and_tailshLj256ELj4ELb0ELj100EEvPKT0_PS1_
		.amdhsa_group_segment_fixed_size 512
		.amdhsa_private_segment_fixed_size 0
		.amdhsa_kernarg_size 16
		.amdhsa_user_sgpr_count 2
		.amdhsa_user_sgpr_dispatch_ptr 0
		.amdhsa_user_sgpr_queue_ptr 0
		.amdhsa_user_sgpr_kernarg_segment_ptr 1
		.amdhsa_user_sgpr_dispatch_id 0
		.amdhsa_user_sgpr_kernarg_preload_length 0
		.amdhsa_user_sgpr_kernarg_preload_offset 0
		.amdhsa_user_sgpr_private_segment_size 0
		.amdhsa_uses_dynamic_stack 0
		.amdhsa_enable_private_segment 0
		.amdhsa_system_sgpr_workgroup_id_x 1
		.amdhsa_system_sgpr_workgroup_id_y 0
		.amdhsa_system_sgpr_workgroup_id_z 0
		.amdhsa_system_sgpr_workgroup_info 0
		.amdhsa_system_vgpr_workitem_id 0
		.amdhsa_next_free_vgpr 12
		.amdhsa_next_free_sgpr 14
		.amdhsa_accum_offset 12
		.amdhsa_reserve_vcc 1
		.amdhsa_float_round_mode_32 0
		.amdhsa_float_round_mode_16_64 0
		.amdhsa_float_denorm_mode_32 3
		.amdhsa_float_denorm_mode_16_64 3
		.amdhsa_dx10_clamp 1
		.amdhsa_ieee_mode 1
		.amdhsa_fp16_overflow 0
		.amdhsa_tg_split 0
		.amdhsa_exception_fp_ieee_invalid_op 0
		.amdhsa_exception_fp_denorm_src 0
		.amdhsa_exception_fp_ieee_div_zero 0
		.amdhsa_exception_fp_ieee_overflow 0
		.amdhsa_exception_fp_ieee_underflow 0
		.amdhsa_exception_fp_ieee_inexact 0
		.amdhsa_exception_int_div_zero 0
	.end_amdhsa_kernel
	.section	.text._Z6kernelI20flag_heads_and_tailshLj256ELj4ELb0ELj100EEvPKT0_PS1_,"axG",@progbits,_Z6kernelI20flag_heads_and_tailshLj256ELj4ELb0ELj100EEvPKT0_PS1_,comdat
.Lfunc_end103:
	.size	_Z6kernelI20flag_heads_and_tailshLj256ELj4ELb0ELj100EEvPKT0_PS1_, .Lfunc_end103-_Z6kernelI20flag_heads_and_tailshLj256ELj4ELb0ELj100EEvPKT0_PS1_
                                        ; -- End function
	.section	.AMDGPU.csdata,"",@progbits
; Kernel info:
; codeLenInByte = 620
; NumSgprs: 20
; NumVgprs: 12
; NumAgprs: 0
; TotalNumVgprs: 12
; ScratchSize: 0
; MemoryBound: 0
; FloatMode: 240
; IeeeMode: 1
; LDSByteSize: 512 bytes/workgroup (compile time only)
; SGPRBlocks: 2
; VGPRBlocks: 1
; NumSGPRsForWavesPerEU: 20
; NumVGPRsForWavesPerEU: 12
; AccumOffset: 12
; Occupancy: 8
; WaveLimiterHint : 1
; COMPUTE_PGM_RSRC2:SCRATCH_EN: 0
; COMPUTE_PGM_RSRC2:USER_SGPR: 2
; COMPUTE_PGM_RSRC2:TRAP_HANDLER: 0
; COMPUTE_PGM_RSRC2:TGID_X_EN: 1
; COMPUTE_PGM_RSRC2:TGID_Y_EN: 0
; COMPUTE_PGM_RSRC2:TGID_Z_EN: 0
; COMPUTE_PGM_RSRC2:TIDIG_COMP_CNT: 0
; COMPUTE_PGM_RSRC3_GFX90A:ACCUM_OFFSET: 2
; COMPUTE_PGM_RSRC3_GFX90A:TG_SPLIT: 0
	.section	.text._Z6kernelI20flag_heads_and_tailshLj256ELj8ELb0ELj100EEvPKT0_PS1_,"axG",@progbits,_Z6kernelI20flag_heads_and_tailshLj256ELj8ELb0ELj100EEvPKT0_PS1_,comdat
	.protected	_Z6kernelI20flag_heads_and_tailshLj256ELj8ELb0ELj100EEvPKT0_PS1_ ; -- Begin function _Z6kernelI20flag_heads_and_tailshLj256ELj8ELb0ELj100EEvPKT0_PS1_
	.globl	_Z6kernelI20flag_heads_and_tailshLj256ELj8ELb0ELj100EEvPKT0_PS1_
	.p2align	8
	.type	_Z6kernelI20flag_heads_and_tailshLj256ELj8ELb0ELj100EEvPKT0_PS1_,@function
_Z6kernelI20flag_heads_and_tailshLj256ELj8ELb0ELj100EEvPKT0_PS1_: ; @_Z6kernelI20flag_heads_and_tailshLj256ELj8ELb0ELj100EEvPKT0_PS1_
; %bb.0:
	s_load_dwordx4 s[4:7], s[0:1], 0x0
	s_lshl_b32 s8, s2, 11
	s_movk_i32 s9, 0xff
	v_mov_b32_e32 v1, 0
	s_movk_i32 s10, 0x64
	s_waitcnt lgkmcnt(0)
	s_add_u32 s0, s4, s8
	s_addc_u32 s1, s5, 0
	global_load_ubyte v2, v0, s[0:1] offset:256
	global_load_ubyte v3, v0, s[0:1] offset:768
	;; [unrolled: 1-line block ×4, first 2 shown]
	global_load_ubyte v6, v0, s[0:1]
	global_load_ubyte v7, v0, s[0:1] offset:512
	global_load_ubyte v9, v0, s[0:1] offset:1024
	;; [unrolled: 1-line block ×3, first 2 shown]
	s_movk_i32 s11, 0x100
	s_mov_b32 s12, 0x3020104
	v_cmp_ne_u32_e32 vcc, 0, v0
	v_cmp_ne_u32_e64 s[0:1], s9, v0
	v_add_u32_e32 v8, -1, v0
	s_waitcnt vmcnt(7)
	v_lshlrev_b16_e32 v2, 8, v2
	s_waitcnt vmcnt(6)
	v_lshlrev_b16_e32 v3, 8, v3
	;; [unrolled: 2-line block ×4, first 2 shown]
	s_waitcnt vmcnt(3)
	v_or_b32_e32 v2, v6, v2
	s_waitcnt vmcnt(2)
	v_or_b32_sdwa v3, v7, v3 dst_sel:WORD_1 dst_unused:UNUSED_PAD src0_sel:DWORD src1_sel:DWORD
	s_waitcnt vmcnt(1)
	v_or_b32_e32 v4, v9, v4
	s_waitcnt vmcnt(0)
	v_or_b32_sdwa v5, v10, v5 dst_sel:WORD_1 dst_unused:UNUSED_PAD src0_sel:DWORD src1_sel:DWORD
	v_or_b32_sdwa v2, v2, v3 dst_sel:DWORD dst_unused:UNUSED_PAD src0_sel:WORD_0 src1_sel:DWORD
	v_or_b32_sdwa v3, v4, v5 dst_sel:DWORD dst_unused:UNUSED_PAD src0_sel:WORD_0 src1_sel:DWORD
	v_mov_b32_e32 v9, 8
	s_branch .LBB104_2
.LBB104_1:                              ;   in Loop: Header=BB104_2 Depth=1
	s_or_b64 exec, exec, s[4:5]
	v_lshrrev_b32_e32 v14, 8, v6
	v_add_u16_e32 v11, v14, v11
	v_lshrrev_b32_e32 v14, 8, v15
	v_add_u16_e32 v11, v11, v14
	;; [unrolled: 2-line block ×3, first 2 shown]
	v_add_u16_sdwa v2, v14, v2 dst_sel:DWORD dst_unused:UNUSED_PAD src0_sel:DWORD src1_sel:WORD_1
	v_lshrrev_b64 v[16:17], 24, v[6:7]
	v_add_u16_sdwa v14, v2, v15 dst_sel:DWORD dst_unused:UNUSED_PAD src0_sel:DWORD src1_sel:WORD_1
	v_add_u16_e32 v2, v16, v4
	v_add_u16_sdwa v4, v2, v15 dst_sel:DWORD dst_unused:UNUSED_PAD src0_sel:DWORD src1_sel:BYTE_3
	v_add_u16_e32 v2, v7, v3
	v_add_u16_e32 v6, v2, v13
	v_lshrrev_b32_e32 v2, 8, v7
	v_lshrrev_b32_e32 v18, 8, v13
	v_add_u16_e32 v2, v2, v10
	v_add_u16_e32 v10, v2, v18
	v_lshrrev_b32_e32 v2, 16, v7
	v_add_u16_sdwa v2, v2, v3 dst_sel:DWORD dst_unused:UNUSED_PAD src0_sel:DWORD src1_sel:WORD_1
	v_add_u16_e32 v12, v12, v15
	v_add_u16_sdwa v15, v2, v13 dst_sel:DWORD dst_unused:UNUSED_PAD src0_sel:DWORD src1_sel:WORD_1
	v_add_u16_sdwa v2, v7, v5 dst_sel:DWORD dst_unused:UNUSED_PAD src0_sel:BYTE_3 src1_sel:DWORD
	v_add_u16_sdwa v5, v2, v13 dst_sel:DWORD dst_unused:UNUSED_PAD src0_sel:DWORD src1_sel:BYTE_3
	v_lshlrev_b16_e32 v2, 8, v4
	v_lshlrev_b16_e32 v3, 8, v11
	v_or_b32_sdwa v2, v14, v2 dst_sel:WORD_1 dst_unused:UNUSED_PAD src0_sel:BYTE_0 src1_sel:DWORD
	v_or_b32_sdwa v3, v12, v3 dst_sel:DWORD dst_unused:UNUSED_PAD src0_sel:BYTE_0 src1_sel:DWORD
	v_or_b32_sdwa v2, v3, v2 dst_sel:DWORD dst_unused:UNUSED_PAD src0_sel:WORD_0 src1_sel:DWORD
	v_lshlrev_b16_e32 v3, 8, v5
	v_lshlrev_b16_e32 v7, 8, v10
	v_or_b32_sdwa v3, v15, v3 dst_sel:WORD_1 dst_unused:UNUSED_PAD src0_sel:BYTE_0 src1_sel:DWORD
	v_or_b32_sdwa v7, v6, v7 dst_sel:DWORD dst_unused:UNUSED_PAD src0_sel:BYTE_0 src1_sel:DWORD
	s_add_i32 s10, s10, -1
	s_cmp_lg_u32 s10, 0
	v_or_b32_sdwa v3, v7, v3 dst_sel:DWORD dst_unused:UNUSED_PAD src0_sel:WORD_0 src1_sel:DWORD
	s_barrier
	s_cbranch_scc0 .LBB104_6
.LBB104_2:                              ; =>This Inner Loop Header: Depth=1
	v_lshrrev_b64 v[4:5], 24, v[2:3]
	v_and_b32_sdwa v7, v3, s9 dst_sel:DWORD dst_unused:UNUSED_PAD src0_sel:WORD_1 src1_sel:DWORD
	v_lshrrev_b32_e32 v5, 24, v3
	v_lshrrev_b32_e32 v10, 8, v3
	v_cmp_eq_u16_e64 s[2:3], v7, v5
	v_and_b32_sdwa v6, v2, s9 dst_sel:DWORD dst_unused:UNUSED_PAD src0_sel:WORD_1 src1_sel:DWORD
	v_lshrrev_b32_e32 v11, 8, v2
	v_cndmask_b32_e64 v12, 0, 1, s[2:3]
	v_cmp_eq_u16_sdwa s[2:3], v10, v7 src0_sel:BYTE_0 src1_sel:DWORD
	v_lshlrev_b16_e32 v19, 8, v12
	ds_write_b8 v0, v5
	v_cndmask_b32_e64 v13, 0, 1, s[2:3]
	v_cmp_eq_u16_sdwa s[2:3], v3, v10 src0_sel:BYTE_0 src1_sel:BYTE_0
	v_or_b32_sdwa v19, v13, v19 dst_sel:WORD_1 dst_unused:UNUSED_PAD src0_sel:DWORD src1_sel:DWORD
	s_waitcnt lgkmcnt(0)
	v_cndmask_b32_e64 v14, 0, 1, s[2:3]
	v_cmp_eq_u16_sdwa s[2:3], v4, v3 src0_sel:BYTE_0 src1_sel:BYTE_0
	s_barrier
	s_nop 0
	v_cndmask_b32_e64 v15, 0, 1, s[2:3]
	v_cmp_eq_u16_sdwa s[2:3], v6, v4 src0_sel:DWORD src1_sel:BYTE_0
	s_nop 1
	v_cndmask_b32_e64 v16, 0, 1, s[2:3]
	v_cmp_eq_u16_sdwa s[2:3], v11, v6 src0_sel:BYTE_0 src1_sel:DWORD
	v_lshlrev_b16_e32 v6, 8, v16
	s_nop 0
	v_cndmask_b32_e64 v17, 0, 1, s[2:3]
	v_cmp_eq_u16_sdwa s[2:3], v2, v11 src0_sel:BYTE_0 src1_sel:BYTE_0
	v_or_b32_sdwa v6, v17, v6 dst_sel:WORD_1 dst_unused:UNUSED_PAD src0_sel:DWORD src1_sel:DWORD
	s_nop 0
	v_cndmask_b32_e64 v18, 0, 1, s[2:3]
	v_lshlrev_b16_e32 v7, 8, v18
	v_or_b32_e32 v7, 1, v7
	v_or_b32_sdwa v6, v7, v6 dst_sel:DWORD dst_unused:UNUSED_PAD src0_sel:WORD_0 src1_sel:DWORD
	v_lshlrev_b16_e32 v7, 8, v14
	v_or_b32_e32 v7, v15, v7
	v_or_b32_sdwa v7, v7, v19 dst_sel:DWORD dst_unused:UNUSED_PAD src0_sel:WORD_0 src1_sel:DWORD
	s_and_saveexec_b64 s[2:3], vcc
	s_cbranch_execz .LBB104_4
; %bb.3:                                ;   in Loop: Header=BB104_2 Depth=1
	ds_read_u8 v19, v8
	v_lshrrev_b32_e32 v21, 24, v6
	v_lshrrev_b32_sdwa v20, v9, v6 dst_sel:BYTE_1 dst_unused:UNUSED_PAD src0_sel:DWORD src1_sel:DWORD
	v_lshlrev_b16_e32 v21, 8, v21
	v_and_b32_sdwa v6, v6, s9 dst_sel:DWORD dst_unused:UNUSED_PAD src0_sel:WORD_1 src1_sel:DWORD
	s_waitcnt lgkmcnt(0)
	v_cmp_eq_u16_sdwa s[4:5], v19, v2 src0_sel:DWORD src1_sel:BYTE_0
	v_or_b32_sdwa v6, v6, v21 dst_sel:WORD_1 dst_unused:UNUSED_PAD src0_sel:DWORD src1_sel:DWORD
	s_nop 0
	v_cndmask_b32_e64 v19, 0, 1, s[4:5]
	v_or_b32_e32 v19, v19, v20
	v_or_b32_sdwa v6, v19, v6 dst_sel:DWORD dst_unused:UNUSED_PAD src0_sel:WORD_0 src1_sel:DWORD
.LBB104_4:                              ;   in Loop: Header=BB104_2 Depth=1
	s_or_b64 exec, exec, s[2:3]
	v_lshlrev_b16_e32 v17, 8, v17
	v_lshlrev_b16_e32 v15, 8, v15
	v_lshlrev_b16_e32 v13, 8, v13
	v_or_b32_e32 v17, v18, v17
	v_or_b32_sdwa v15, v16, v15 dst_sel:WORD_1 dst_unused:UNUSED_PAD src0_sel:DWORD src1_sel:DWORD
	v_or_b32_e32 v13, v14, v13
	v_or_b32_sdwa v12, v12, s11 dst_sel:WORD_1 dst_unused:UNUSED_PAD src0_sel:DWORD src1_sel:DWORD
	v_or_b32_sdwa v15, v17, v15 dst_sel:DWORD dst_unused:UNUSED_PAD src0_sel:WORD_0 src1_sel:DWORD
	v_or_b32_sdwa v13, v13, v12 dst_sel:DWORD dst_unused:UNUSED_PAD src0_sel:WORD_0 src1_sel:DWORD
	ds_write_b8 v0, v2 offset:256
	s_waitcnt lgkmcnt(0)
	s_barrier
	s_and_saveexec_b64 s[4:5], s[0:1]
	s_cbranch_execz .LBB104_1
; %bb.5:                                ;   in Loop: Header=BB104_2 Depth=1
	ds_read_u8 v12, v0 offset:257
	v_lshrrev_b32_sdwa v14, v9, v13 dst_sel:BYTE_1 dst_unused:UNUSED_PAD src0_sel:DWORD src1_sel:DWORD
	v_perm_b32 v15, v15, v15, s12
	v_or_b32_sdwa v14, v13, v14 dst_sel:DWORD dst_unused:UNUSED_PAD src0_sel:BYTE_0 src1_sel:DWORD
	v_and_b32_sdwa v13, v13, s9 dst_sel:DWORD dst_unused:UNUSED_PAD src0_sel:WORD_1 src1_sel:DWORD
	s_waitcnt lgkmcnt(0)
	v_cmp_eq_u16_e64 s[2:3], v5, v12
	s_nop 1
	v_cndmask_b32_e64 v12, 0, 1, s[2:3]
	v_lshlrev_b16_e32 v12, 8, v12
	v_or_b32_sdwa v12, v13, v12 dst_sel:WORD_1 dst_unused:UNUSED_PAD src0_sel:DWORD src1_sel:DWORD
	s_nop 0
	v_or_b32_sdwa v13, v14, v12 dst_sel:DWORD dst_unused:UNUSED_PAD src0_sel:WORD_0 src1_sel:DWORD
	s_branch .LBB104_1
.LBB104_6:
	s_add_u32 s0, s6, s8
	s_addc_u32 s1, s7, 0
	v_lshl_add_u64 v[0:1], s[0:1], 0, v[0:1]
	global_store_byte v[0:1], v12, off
	global_store_byte v[0:1], v11, off offset:256
	global_store_byte v[0:1], v14, off offset:512
	;; [unrolled: 1-line block ×7, first 2 shown]
	s_endpgm
	.section	.rodata,"a",@progbits
	.p2align	6, 0x0
	.amdhsa_kernel _Z6kernelI20flag_heads_and_tailshLj256ELj8ELb0ELj100EEvPKT0_PS1_
		.amdhsa_group_segment_fixed_size 512
		.amdhsa_private_segment_fixed_size 0
		.amdhsa_kernarg_size 16
		.amdhsa_user_sgpr_count 2
		.amdhsa_user_sgpr_dispatch_ptr 0
		.amdhsa_user_sgpr_queue_ptr 0
		.amdhsa_user_sgpr_kernarg_segment_ptr 1
		.amdhsa_user_sgpr_dispatch_id 0
		.amdhsa_user_sgpr_kernarg_preload_length 0
		.amdhsa_user_sgpr_kernarg_preload_offset 0
		.amdhsa_user_sgpr_private_segment_size 0
		.amdhsa_uses_dynamic_stack 0
		.amdhsa_enable_private_segment 0
		.amdhsa_system_sgpr_workgroup_id_x 1
		.amdhsa_system_sgpr_workgroup_id_y 0
		.amdhsa_system_sgpr_workgroup_id_z 0
		.amdhsa_system_sgpr_workgroup_info 0
		.amdhsa_system_vgpr_workitem_id 0
		.amdhsa_next_free_vgpr 22
		.amdhsa_next_free_sgpr 13
		.amdhsa_accum_offset 24
		.amdhsa_reserve_vcc 1
		.amdhsa_float_round_mode_32 0
		.amdhsa_float_round_mode_16_64 0
		.amdhsa_float_denorm_mode_32 3
		.amdhsa_float_denorm_mode_16_64 3
		.amdhsa_dx10_clamp 1
		.amdhsa_ieee_mode 1
		.amdhsa_fp16_overflow 0
		.amdhsa_tg_split 0
		.amdhsa_exception_fp_ieee_invalid_op 0
		.amdhsa_exception_fp_denorm_src 0
		.amdhsa_exception_fp_ieee_div_zero 0
		.amdhsa_exception_fp_ieee_overflow 0
		.amdhsa_exception_fp_ieee_underflow 0
		.amdhsa_exception_fp_ieee_inexact 0
		.amdhsa_exception_int_div_zero 0
	.end_amdhsa_kernel
	.section	.text._Z6kernelI20flag_heads_and_tailshLj256ELj8ELb0ELj100EEvPKT0_PS1_,"axG",@progbits,_Z6kernelI20flag_heads_and_tailshLj256ELj8ELb0ELj100EEvPKT0_PS1_,comdat
.Lfunc_end104:
	.size	_Z6kernelI20flag_heads_and_tailshLj256ELj8ELb0ELj100EEvPKT0_PS1_, .Lfunc_end104-_Z6kernelI20flag_heads_and_tailshLj256ELj8ELb0ELj100EEvPKT0_PS1_
                                        ; -- End function
	.section	.AMDGPU.csdata,"",@progbits
; Kernel info:
; codeLenInByte = 1008
; NumSgprs: 19
; NumVgprs: 22
; NumAgprs: 0
; TotalNumVgprs: 22
; ScratchSize: 0
; MemoryBound: 0
; FloatMode: 240
; IeeeMode: 1
; LDSByteSize: 512 bytes/workgroup (compile time only)
; SGPRBlocks: 2
; VGPRBlocks: 2
; NumSGPRsForWavesPerEU: 19
; NumVGPRsForWavesPerEU: 22
; AccumOffset: 24
; Occupancy: 8
; WaveLimiterHint : 1
; COMPUTE_PGM_RSRC2:SCRATCH_EN: 0
; COMPUTE_PGM_RSRC2:USER_SGPR: 2
; COMPUTE_PGM_RSRC2:TRAP_HANDLER: 0
; COMPUTE_PGM_RSRC2:TGID_X_EN: 1
; COMPUTE_PGM_RSRC2:TGID_Y_EN: 0
; COMPUTE_PGM_RSRC2:TGID_Z_EN: 0
; COMPUTE_PGM_RSRC2:TIDIG_COMP_CNT: 0
; COMPUTE_PGM_RSRC3_GFX90A:ACCUM_OFFSET: 5
; COMPUTE_PGM_RSRC3_GFX90A:TG_SPLIT: 0
	.section	.text._Z6kernelI20flag_heads_and_tailshLj256ELj1ELb1ELj100EEvPKT0_PS1_,"axG",@progbits,_Z6kernelI20flag_heads_and_tailshLj256ELj1ELb1ELj100EEvPKT0_PS1_,comdat
	.protected	_Z6kernelI20flag_heads_and_tailshLj256ELj1ELb1ELj100EEvPKT0_PS1_ ; -- Begin function _Z6kernelI20flag_heads_and_tailshLj256ELj1ELb1ELj100EEvPKT0_PS1_
	.globl	_Z6kernelI20flag_heads_and_tailshLj256ELj1ELb1ELj100EEvPKT0_PS1_
	.p2align	8
	.type	_Z6kernelI20flag_heads_and_tailshLj256ELj1ELb1ELj100EEvPKT0_PS1_,@function
_Z6kernelI20flag_heads_and_tailshLj256ELj1ELb1ELj100EEvPKT0_PS1_: ; @_Z6kernelI20flag_heads_and_tailshLj256ELj1ELb1ELj100EEvPKT0_PS1_
; %bb.0:
	s_load_dwordx4 s[4:7], s[0:1], 0x0
	s_lshl_b32 s8, s2, 8
	v_mov_b32_e32 v1, 0
	v_cmp_ne_u32_e32 vcc, 0, v0
	v_add_u32_e32 v3, -1, v0
	s_waitcnt lgkmcnt(0)
	s_add_u32 s0, s4, s8
	s_addc_u32 s1, s5, 0
	global_load_ubyte v2, v0, s[0:1]
	s_movk_i32 s0, 0xff
	v_cmp_ne_u32_e64 s[0:1], s0, v0
	s_movk_i32 s4, 0x64
	s_branch .LBB105_2
.LBB105_1:                              ;   in Loop: Header=BB105_2 Depth=1
	s_or_b64 exec, exec, s[2:3]
	v_cmp_eq_u16_sdwa s[2:3], v4, v2 src0_sel:BYTE_0 src1_sel:BYTE_0
	s_add_i32 s4, s4, -1
	s_cmp_lg_u32 s4, 0
	v_cndmask_b32_e64 v4, 0, 1, s[2:3]
	s_waitcnt lgkmcnt(0)
	v_cmp_eq_u16_sdwa s[2:3], v5, v2 src0_sel:BYTE_0 src1_sel:BYTE_0
	v_add_u16_e32 v2, v2, v4
	s_nop 0
	v_cndmask_b32_e64 v5, 0, 1, s[2:3]
	v_add_u16_e32 v2, v2, v5
	s_barrier
	s_cbranch_scc0 .LBB105_6
.LBB105_2:                              ; =>This Inner Loop Header: Depth=1
	v_mov_b32_e32 v4, 0x7b
	s_waitcnt vmcnt(0)
	ds_write_b8 v0, v2
	s_waitcnt lgkmcnt(0)
	s_barrier
	s_and_saveexec_b64 s[2:3], vcc
	s_cbranch_execz .LBB105_4
; %bb.3:                                ;   in Loop: Header=BB105_2 Depth=1
	ds_read_u8 v4, v3
.LBB105_4:                              ;   in Loop: Header=BB105_2 Depth=1
	s_or_b64 exec, exec, s[2:3]
	v_mov_b32_e32 v5, 0xea
	ds_write_b8 v0, v2 offset:256
	s_waitcnt lgkmcnt(0)
	s_barrier
	s_and_saveexec_b64 s[2:3], s[0:1]
	s_cbranch_execz .LBB105_1
; %bb.5:                                ;   in Loop: Header=BB105_2 Depth=1
	ds_read_u8 v5, v0 offset:257
	s_branch .LBB105_1
.LBB105_6:
	s_add_u32 s0, s6, s8
	s_addc_u32 s1, s7, 0
	v_lshl_add_u64 v[0:1], s[0:1], 0, v[0:1]
	global_store_byte v[0:1], v2, off
	s_endpgm
	.section	.rodata,"a",@progbits
	.p2align	6, 0x0
	.amdhsa_kernel _Z6kernelI20flag_heads_and_tailshLj256ELj1ELb1ELj100EEvPKT0_PS1_
		.amdhsa_group_segment_fixed_size 512
		.amdhsa_private_segment_fixed_size 0
		.amdhsa_kernarg_size 16
		.amdhsa_user_sgpr_count 2
		.amdhsa_user_sgpr_dispatch_ptr 0
		.amdhsa_user_sgpr_queue_ptr 0
		.amdhsa_user_sgpr_kernarg_segment_ptr 1
		.amdhsa_user_sgpr_dispatch_id 0
		.amdhsa_user_sgpr_kernarg_preload_length 0
		.amdhsa_user_sgpr_kernarg_preload_offset 0
		.amdhsa_user_sgpr_private_segment_size 0
		.amdhsa_uses_dynamic_stack 0
		.amdhsa_enable_private_segment 0
		.amdhsa_system_sgpr_workgroup_id_x 1
		.amdhsa_system_sgpr_workgroup_id_y 0
		.amdhsa_system_sgpr_workgroup_id_z 0
		.amdhsa_system_sgpr_workgroup_info 0
		.amdhsa_system_vgpr_workitem_id 0
		.amdhsa_next_free_vgpr 6
		.amdhsa_next_free_sgpr 9
		.amdhsa_accum_offset 8
		.amdhsa_reserve_vcc 1
		.amdhsa_float_round_mode_32 0
		.amdhsa_float_round_mode_16_64 0
		.amdhsa_float_denorm_mode_32 3
		.amdhsa_float_denorm_mode_16_64 3
		.amdhsa_dx10_clamp 1
		.amdhsa_ieee_mode 1
		.amdhsa_fp16_overflow 0
		.amdhsa_tg_split 0
		.amdhsa_exception_fp_ieee_invalid_op 0
		.amdhsa_exception_fp_denorm_src 0
		.amdhsa_exception_fp_ieee_div_zero 0
		.amdhsa_exception_fp_ieee_overflow 0
		.amdhsa_exception_fp_ieee_underflow 0
		.amdhsa_exception_fp_ieee_inexact 0
		.amdhsa_exception_int_div_zero 0
	.end_amdhsa_kernel
	.section	.text._Z6kernelI20flag_heads_and_tailshLj256ELj1ELb1ELj100EEvPKT0_PS1_,"axG",@progbits,_Z6kernelI20flag_heads_and_tailshLj256ELj1ELb1ELj100EEvPKT0_PS1_,comdat
.Lfunc_end105:
	.size	_Z6kernelI20flag_heads_and_tailshLj256ELj1ELb1ELj100EEvPKT0_PS1_, .Lfunc_end105-_Z6kernelI20flag_heads_and_tailshLj256ELj1ELb1ELj100EEvPKT0_PS1_
                                        ; -- End function
	.section	.AMDGPU.csdata,"",@progbits
; Kernel info:
; codeLenInByte = 252
; NumSgprs: 15
; NumVgprs: 6
; NumAgprs: 0
; TotalNumVgprs: 6
; ScratchSize: 0
; MemoryBound: 0
; FloatMode: 240
; IeeeMode: 1
; LDSByteSize: 512 bytes/workgroup (compile time only)
; SGPRBlocks: 1
; VGPRBlocks: 0
; NumSGPRsForWavesPerEU: 15
; NumVGPRsForWavesPerEU: 6
; AccumOffset: 8
; Occupancy: 8
; WaveLimiterHint : 0
; COMPUTE_PGM_RSRC2:SCRATCH_EN: 0
; COMPUTE_PGM_RSRC2:USER_SGPR: 2
; COMPUTE_PGM_RSRC2:TRAP_HANDLER: 0
; COMPUTE_PGM_RSRC2:TGID_X_EN: 1
; COMPUTE_PGM_RSRC2:TGID_Y_EN: 0
; COMPUTE_PGM_RSRC2:TGID_Z_EN: 0
; COMPUTE_PGM_RSRC2:TIDIG_COMP_CNT: 0
; COMPUTE_PGM_RSRC3_GFX90A:ACCUM_OFFSET: 1
; COMPUTE_PGM_RSRC3_GFX90A:TG_SPLIT: 0
	.section	.text._Z6kernelI20flag_heads_and_tailshLj256ELj2ELb1ELj100EEvPKT0_PS1_,"axG",@progbits,_Z6kernelI20flag_heads_and_tailshLj256ELj2ELb1ELj100EEvPKT0_PS1_,comdat
	.protected	_Z6kernelI20flag_heads_and_tailshLj256ELj2ELb1ELj100EEvPKT0_PS1_ ; -- Begin function _Z6kernelI20flag_heads_and_tailshLj256ELj2ELb1ELj100EEvPKT0_PS1_
	.globl	_Z6kernelI20flag_heads_and_tailshLj256ELj2ELb1ELj100EEvPKT0_PS1_
	.p2align	8
	.type	_Z6kernelI20flag_heads_and_tailshLj256ELj2ELb1ELj100EEvPKT0_PS1_,@function
_Z6kernelI20flag_heads_and_tailshLj256ELj2ELb1ELj100EEvPKT0_PS1_: ; @_Z6kernelI20flag_heads_and_tailshLj256ELj2ELb1ELj100EEvPKT0_PS1_
; %bb.0:
	s_load_dwordx4 s[4:7], s[0:1], 0x0
	s_lshl_b32 s8, s2, 9
	v_mov_b32_e32 v1, 0
	v_cmp_ne_u32_e32 vcc, 0, v0
	v_add_u32_e32 v2, -1, v0
	s_waitcnt lgkmcnt(0)
	s_add_u32 s0, s4, s8
	s_addc_u32 s1, s5, 0
	global_load_ubyte v3, v0, s[0:1] offset:256
	global_load_ubyte v4, v0, s[0:1]
	s_movk_i32 s0, 0xff
	v_cmp_ne_u32_e64 s[0:1], s0, v0
	s_movk_i32 s4, 0x64
	s_waitcnt vmcnt(1)
	v_lshlrev_b16_e32 v3, 8, v3
	s_waitcnt vmcnt(0)
	v_or_b32_e32 v3, v4, v3
	v_and_b32_e32 v3, 0xffff, v3
	s_branch .LBB106_2
.LBB106_1:                              ;   in Loop: Header=BB106_2 Depth=1
	s_or_b64 exec, exec, s[2:3]
	v_cmp_eq_u16_sdwa s[2:3], v5, v3 src0_sel:BYTE_0 src1_sel:BYTE_0
	s_add_i32 s4, s4, -1
	s_cmp_lg_u32 s4, 0
	v_cndmask_b32_e64 v5, 0, 1, s[2:3]
	v_cmp_eq_u16_sdwa s[2:3], v3, v4 src0_sel:BYTE_0 src1_sel:DWORD
	s_waitcnt lgkmcnt(0)
	s_barrier
	v_cndmask_b32_e64 v7, 0, 1, s[2:3]
	v_cmp_eq_u16_sdwa s[2:3], v6, v4 src0_sel:BYTE_0 src1_sel:DWORD
	v_add_u16_e32 v3, v3, v7
	v_add_u16_e32 v5, v3, v5
	v_cndmask_b32_e64 v6, 0, 1, s[2:3]
	v_add_u16_e32 v3, v4, v7
	v_add_u16_e32 v4, v3, v6
	v_lshlrev_b16_e32 v3, 8, v4
	v_or_b32_sdwa v3, v5, v3 dst_sel:DWORD dst_unused:UNUSED_PAD src0_sel:BYTE_0 src1_sel:DWORD
	v_and_b32_e32 v3, 0xffff, v3
	s_cbranch_scc0 .LBB106_6
.LBB106_2:                              ; =>This Inner Loop Header: Depth=1
	v_lshrrev_b16_e32 v4, 8, v3
	v_mov_b32_e32 v5, 0x7b
	ds_write_b8 v0, v4
	s_waitcnt lgkmcnt(0)
	s_barrier
	s_and_saveexec_b64 s[2:3], vcc
	s_cbranch_execz .LBB106_4
; %bb.3:                                ;   in Loop: Header=BB106_2 Depth=1
	ds_read_u8 v5, v2
.LBB106_4:                              ;   in Loop: Header=BB106_2 Depth=1
	s_or_b64 exec, exec, s[2:3]
	v_mov_b32_e32 v6, 0xea
	ds_write_b8 v0, v3 offset:256
	s_waitcnt lgkmcnt(0)
	s_barrier
	s_and_saveexec_b64 s[2:3], s[0:1]
	s_cbranch_execz .LBB106_1
; %bb.5:                                ;   in Loop: Header=BB106_2 Depth=1
	ds_read_u8 v6, v0 offset:257
	s_branch .LBB106_1
.LBB106_6:
	s_add_u32 s0, s6, s8
	s_addc_u32 s1, s7, 0
	v_lshl_add_u64 v[0:1], s[0:1], 0, v[0:1]
	global_store_byte v[0:1], v5, off
	global_store_byte v[0:1], v4, off offset:256
	s_endpgm
	.section	.rodata,"a",@progbits
	.p2align	6, 0x0
	.amdhsa_kernel _Z6kernelI20flag_heads_and_tailshLj256ELj2ELb1ELj100EEvPKT0_PS1_
		.amdhsa_group_segment_fixed_size 512
		.amdhsa_private_segment_fixed_size 0
		.amdhsa_kernarg_size 16
		.amdhsa_user_sgpr_count 2
		.amdhsa_user_sgpr_dispatch_ptr 0
		.amdhsa_user_sgpr_queue_ptr 0
		.amdhsa_user_sgpr_kernarg_segment_ptr 1
		.amdhsa_user_sgpr_dispatch_id 0
		.amdhsa_user_sgpr_kernarg_preload_length 0
		.amdhsa_user_sgpr_kernarg_preload_offset 0
		.amdhsa_user_sgpr_private_segment_size 0
		.amdhsa_uses_dynamic_stack 0
		.amdhsa_enable_private_segment 0
		.amdhsa_system_sgpr_workgroup_id_x 1
		.amdhsa_system_sgpr_workgroup_id_y 0
		.amdhsa_system_sgpr_workgroup_id_z 0
		.amdhsa_system_sgpr_workgroup_info 0
		.amdhsa_system_vgpr_workitem_id 0
		.amdhsa_next_free_vgpr 8
		.amdhsa_next_free_sgpr 9
		.amdhsa_accum_offset 8
		.amdhsa_reserve_vcc 1
		.amdhsa_float_round_mode_32 0
		.amdhsa_float_round_mode_16_64 0
		.amdhsa_float_denorm_mode_32 3
		.amdhsa_float_denorm_mode_16_64 3
		.amdhsa_dx10_clamp 1
		.amdhsa_ieee_mode 1
		.amdhsa_fp16_overflow 0
		.amdhsa_tg_split 0
		.amdhsa_exception_fp_ieee_invalid_op 0
		.amdhsa_exception_fp_denorm_src 0
		.amdhsa_exception_fp_ieee_div_zero 0
		.amdhsa_exception_fp_ieee_overflow 0
		.amdhsa_exception_fp_ieee_underflow 0
		.amdhsa_exception_fp_ieee_inexact 0
		.amdhsa_exception_int_div_zero 0
	.end_amdhsa_kernel
	.section	.text._Z6kernelI20flag_heads_and_tailshLj256ELj2ELb1ELj100EEvPKT0_PS1_,"axG",@progbits,_Z6kernelI20flag_heads_and_tailshLj256ELj2ELb1ELj100EEvPKT0_PS1_,comdat
.Lfunc_end106:
	.size	_Z6kernelI20flag_heads_and_tailshLj256ELj2ELb1ELj100EEvPKT0_PS1_, .Lfunc_end106-_Z6kernelI20flag_heads_and_tailshLj256ELj2ELb1ELj100EEvPKT0_PS1_
                                        ; -- End function
	.section	.AMDGPU.csdata,"",@progbits
; Kernel info:
; codeLenInByte = 332
; NumSgprs: 15
; NumVgprs: 8
; NumAgprs: 0
; TotalNumVgprs: 8
; ScratchSize: 0
; MemoryBound: 0
; FloatMode: 240
; IeeeMode: 1
; LDSByteSize: 512 bytes/workgroup (compile time only)
; SGPRBlocks: 1
; VGPRBlocks: 0
; NumSGPRsForWavesPerEU: 15
; NumVGPRsForWavesPerEU: 8
; AccumOffset: 8
; Occupancy: 8
; WaveLimiterHint : 1
; COMPUTE_PGM_RSRC2:SCRATCH_EN: 0
; COMPUTE_PGM_RSRC2:USER_SGPR: 2
; COMPUTE_PGM_RSRC2:TRAP_HANDLER: 0
; COMPUTE_PGM_RSRC2:TGID_X_EN: 1
; COMPUTE_PGM_RSRC2:TGID_Y_EN: 0
; COMPUTE_PGM_RSRC2:TGID_Z_EN: 0
; COMPUTE_PGM_RSRC2:TIDIG_COMP_CNT: 0
; COMPUTE_PGM_RSRC3_GFX90A:ACCUM_OFFSET: 1
; COMPUTE_PGM_RSRC3_GFX90A:TG_SPLIT: 0
	.section	.text._Z6kernelI20flag_heads_and_tailshLj256ELj3ELb1ELj100EEvPKT0_PS1_,"axG",@progbits,_Z6kernelI20flag_heads_and_tailshLj256ELj3ELb1ELj100EEvPKT0_PS1_,comdat
	.protected	_Z6kernelI20flag_heads_and_tailshLj256ELj3ELb1ELj100EEvPKT0_PS1_ ; -- Begin function _Z6kernelI20flag_heads_and_tailshLj256ELj3ELb1ELj100EEvPKT0_PS1_
	.globl	_Z6kernelI20flag_heads_and_tailshLj256ELj3ELb1ELj100EEvPKT0_PS1_
	.p2align	8
	.type	_Z6kernelI20flag_heads_and_tailshLj256ELj3ELb1ELj100EEvPKT0_PS1_,@function
_Z6kernelI20flag_heads_and_tailshLj256ELj3ELb1ELj100EEvPKT0_PS1_: ; @_Z6kernelI20flag_heads_and_tailshLj256ELj3ELb1ELj100EEvPKT0_PS1_
; %bb.0:
	s_load_dwordx4 s[4:7], s[0:1], 0x0
	s_mul_i32 s8, s2, 0x300
	v_mov_b32_e32 v1, 0
	v_cmp_ne_u32_e32 vcc, 0, v0
	v_add_u32_e32 v2, -1, v0
	s_waitcnt lgkmcnt(0)
	s_add_u32 s0, s4, s8
	s_addc_u32 s1, s5, 0
	global_load_ubyte v3, v0, s[0:1] offset:256
	global_load_ubyte v4, v0, s[0:1]
	global_load_ubyte v5, v0, s[0:1] offset:512
	s_movk_i32 s0, 0xff
	v_cmp_ne_u32_e64 s[0:1], s0, v0
	s_movk_i32 s4, 0x64
	s_waitcnt vmcnt(2)
	v_lshlrev_b16_e32 v3, 8, v3
	s_waitcnt vmcnt(1)
	v_or_b32_e32 v3, v4, v3
	v_and_b32_e32 v3, 0xffff, v3
	s_waitcnt vmcnt(0)
	v_lshl_or_b32 v3, v5, 16, v3
	s_branch .LBB107_2
.LBB107_1:                              ;   in Loop: Header=BB107_2 Depth=1
	s_or_b64 exec, exec, s[2:3]
	v_cmp_eq_u16_sdwa s[2:3], v5, v3 src0_sel:BYTE_0 src1_sel:BYTE_0
	v_lshrrev_b32_e32 v7, 8, v3
	s_add_i32 s4, s4, -1
	v_cndmask_b32_e64 v5, 0, 1, s[2:3]
	v_cmp_eq_u16_sdwa s[2:3], v7, v4 src0_sel:BYTE_0 src1_sel:BYTE_0
	s_cmp_lg_u32 s4, 0
	s_waitcnt lgkmcnt(0)
	v_cndmask_b32_e64 v8, 0, 1, s[2:3]
	v_cmp_eq_u16_sdwa s[2:3], v3, v7 src0_sel:BYTE_0 src1_sel:BYTE_0
	s_barrier
	s_nop 0
	v_cndmask_b32_e64 v9, 0, 1, s[2:3]
	v_add_u16_e32 v3, v3, v9
	v_cmp_eq_u16_sdwa s[2:3], v4, v6 src0_sel:BYTE_0 src1_sel:BYTE_0
	v_add_u16_e32 v5, v3, v5
	v_add_u16_e32 v3, v7, v9
	v_cndmask_b32_e64 v10, 0, 1, s[2:3]
	v_add_u16_e32 v6, v3, v8
	v_add_u16_e32 v3, v4, v8
	;; [unrolled: 1-line block ×3, first 2 shown]
	v_lshlrev_b16_e32 v3, 8, v6
	v_and_b32_e32 v7, 0xff, v4
	v_or_b32_sdwa v3, v5, v3 dst_sel:DWORD dst_unused:UNUSED_PAD src0_sel:BYTE_0 src1_sel:DWORD
	v_lshlrev_b32_e32 v7, 16, v7
	v_or_b32_sdwa v3, v3, v7 dst_sel:DWORD dst_unused:UNUSED_PAD src0_sel:WORD_0 src1_sel:DWORD
	s_cbranch_scc0 .LBB107_6
.LBB107_2:                              ; =>This Inner Loop Header: Depth=1
	v_lshrrev_b32_e32 v4, 16, v3
	v_mov_b32_e32 v5, 0x7b
	ds_write_b8 v0, v4
	s_waitcnt lgkmcnt(0)
	s_barrier
	s_and_saveexec_b64 s[2:3], vcc
	s_cbranch_execz .LBB107_4
; %bb.3:                                ;   in Loop: Header=BB107_2 Depth=1
	ds_read_u8 v5, v2
.LBB107_4:                              ;   in Loop: Header=BB107_2 Depth=1
	s_or_b64 exec, exec, s[2:3]
	v_mov_b32_e32 v6, 0xea
	ds_write_b8 v0, v3 offset:256
	s_waitcnt lgkmcnt(0)
	s_barrier
	s_and_saveexec_b64 s[2:3], s[0:1]
	s_cbranch_execz .LBB107_1
; %bb.5:                                ;   in Loop: Header=BB107_2 Depth=1
	ds_read_u8 v6, v0 offset:257
	s_branch .LBB107_1
.LBB107_6:
	s_add_u32 s0, s6, s8
	s_addc_u32 s1, s7, 0
	v_lshl_add_u64 v[0:1], s[0:1], 0, v[0:1]
	global_store_byte v[0:1], v5, off
	global_store_byte v[0:1], v6, off offset:256
	global_store_byte v[0:1], v4, off offset:512
	s_endpgm
	.section	.rodata,"a",@progbits
	.p2align	6, 0x0
	.amdhsa_kernel _Z6kernelI20flag_heads_and_tailshLj256ELj3ELb1ELj100EEvPKT0_PS1_
		.amdhsa_group_segment_fixed_size 512
		.amdhsa_private_segment_fixed_size 0
		.amdhsa_kernarg_size 16
		.amdhsa_user_sgpr_count 2
		.amdhsa_user_sgpr_dispatch_ptr 0
		.amdhsa_user_sgpr_queue_ptr 0
		.amdhsa_user_sgpr_kernarg_segment_ptr 1
		.amdhsa_user_sgpr_dispatch_id 0
		.amdhsa_user_sgpr_kernarg_preload_length 0
		.amdhsa_user_sgpr_kernarg_preload_offset 0
		.amdhsa_user_sgpr_private_segment_size 0
		.amdhsa_uses_dynamic_stack 0
		.amdhsa_enable_private_segment 0
		.amdhsa_system_sgpr_workgroup_id_x 1
		.amdhsa_system_sgpr_workgroup_id_y 0
		.amdhsa_system_sgpr_workgroup_id_z 0
		.amdhsa_system_sgpr_workgroup_info 0
		.amdhsa_system_vgpr_workitem_id 0
		.amdhsa_next_free_vgpr 11
		.amdhsa_next_free_sgpr 9
		.amdhsa_accum_offset 12
		.amdhsa_reserve_vcc 1
		.amdhsa_float_round_mode_32 0
		.amdhsa_float_round_mode_16_64 0
		.amdhsa_float_denorm_mode_32 3
		.amdhsa_float_denorm_mode_16_64 3
		.amdhsa_dx10_clamp 1
		.amdhsa_ieee_mode 1
		.amdhsa_fp16_overflow 0
		.amdhsa_tg_split 0
		.amdhsa_exception_fp_ieee_invalid_op 0
		.amdhsa_exception_fp_denorm_src 0
		.amdhsa_exception_fp_ieee_div_zero 0
		.amdhsa_exception_fp_ieee_overflow 0
		.amdhsa_exception_fp_ieee_underflow 0
		.amdhsa_exception_fp_ieee_inexact 0
		.amdhsa_exception_int_div_zero 0
	.end_amdhsa_kernel
	.section	.text._Z6kernelI20flag_heads_and_tailshLj256ELj3ELb1ELj100EEvPKT0_PS1_,"axG",@progbits,_Z6kernelI20flag_heads_and_tailshLj256ELj3ELb1ELj100EEvPKT0_PS1_,comdat
.Lfunc_end107:
	.size	_Z6kernelI20flag_heads_and_tailshLj256ELj3ELb1ELj100EEvPKT0_PS1_, .Lfunc_end107-_Z6kernelI20flag_heads_and_tailshLj256ELj3ELb1ELj100EEvPKT0_PS1_
                                        ; -- End function
	.section	.AMDGPU.csdata,"",@progbits
; Kernel info:
; codeLenInByte = 408
; NumSgprs: 15
; NumVgprs: 11
; NumAgprs: 0
; TotalNumVgprs: 11
; ScratchSize: 0
; MemoryBound: 0
; FloatMode: 240
; IeeeMode: 1
; LDSByteSize: 512 bytes/workgroup (compile time only)
; SGPRBlocks: 1
; VGPRBlocks: 1
; NumSGPRsForWavesPerEU: 15
; NumVGPRsForWavesPerEU: 11
; AccumOffset: 12
; Occupancy: 8
; WaveLimiterHint : 1
; COMPUTE_PGM_RSRC2:SCRATCH_EN: 0
; COMPUTE_PGM_RSRC2:USER_SGPR: 2
; COMPUTE_PGM_RSRC2:TRAP_HANDLER: 0
; COMPUTE_PGM_RSRC2:TGID_X_EN: 1
; COMPUTE_PGM_RSRC2:TGID_Y_EN: 0
; COMPUTE_PGM_RSRC2:TGID_Z_EN: 0
; COMPUTE_PGM_RSRC2:TIDIG_COMP_CNT: 0
; COMPUTE_PGM_RSRC3_GFX90A:ACCUM_OFFSET: 2
; COMPUTE_PGM_RSRC3_GFX90A:TG_SPLIT: 0
	.section	.text._Z6kernelI20flag_heads_and_tailshLj256ELj4ELb1ELj100EEvPKT0_PS1_,"axG",@progbits,_Z6kernelI20flag_heads_and_tailshLj256ELj4ELb1ELj100EEvPKT0_PS1_,comdat
	.protected	_Z6kernelI20flag_heads_and_tailshLj256ELj4ELb1ELj100EEvPKT0_PS1_ ; -- Begin function _Z6kernelI20flag_heads_and_tailshLj256ELj4ELb1ELj100EEvPKT0_PS1_
	.globl	_Z6kernelI20flag_heads_and_tailshLj256ELj4ELb1ELj100EEvPKT0_PS1_
	.p2align	8
	.type	_Z6kernelI20flag_heads_and_tailshLj256ELj4ELb1ELj100EEvPKT0_PS1_,@function
_Z6kernelI20flag_heads_and_tailshLj256ELj4ELb1ELj100EEvPKT0_PS1_: ; @_Z6kernelI20flag_heads_and_tailshLj256ELj4ELb1ELj100EEvPKT0_PS1_
; %bb.0:
	s_load_dwordx4 s[4:7], s[0:1], 0x0
	s_lshl_b32 s8, s2, 10
	v_mov_b32_e32 v1, 0
	v_cmp_ne_u32_e32 vcc, 0, v0
	v_add_u32_e32 v2, -1, v0
	s_waitcnt lgkmcnt(0)
	s_add_u32 s0, s4, s8
	s_addc_u32 s1, s5, 0
	global_load_ubyte v3, v0, s[0:1] offset:256
	global_load_ubyte v4, v0, s[0:1] offset:768
	global_load_ubyte v5, v0, s[0:1]
	global_load_ubyte v6, v0, s[0:1] offset:512
	s_movk_i32 s4, 0xff
	v_cmp_ne_u32_e64 s[0:1], s4, v0
	s_movk_i32 s5, 0x64
	s_waitcnt vmcnt(3)
	v_lshlrev_b16_e32 v3, 8, v3
	s_waitcnt vmcnt(2)
	v_lshlrev_b16_e32 v4, 8, v4
	s_waitcnt vmcnt(1)
	v_or_b32_e32 v3, v5, v3
	s_waitcnt vmcnt(0)
	v_or_b32_sdwa v4, v6, v4 dst_sel:WORD_1 dst_unused:UNUSED_PAD src0_sel:DWORD src1_sel:DWORD
	s_nop 0
	v_or_b32_sdwa v3, v3, v4 dst_sel:DWORD dst_unused:UNUSED_PAD src0_sel:WORD_0 src1_sel:DWORD
	s_branch .LBB108_2
.LBB108_1:                              ;   in Loop: Header=BB108_2 Depth=1
	s_or_b64 exec, exec, s[2:3]
	v_cmp_eq_u16_sdwa s[2:3], v5, v3 src0_sel:BYTE_0 src1_sel:BYTE_0
	v_and_b32_sdwa v8, v3, s4 dst_sel:DWORD dst_unused:UNUSED_PAD src0_sel:WORD_1 src1_sel:DWORD
	v_lshrrev_b32_e32 v7, 8, v3
	v_cndmask_b32_e64 v5, 0, 1, s[2:3]
	v_cmp_eq_u16_e64 s[2:3], v8, v4
	s_add_i32 s5, s5, -1
	s_cmp_lg_u32 s5, 0
	v_cndmask_b32_e64 v9, 0, 1, s[2:3]
	v_cmp_eq_u16_sdwa s[2:3], v7, v8 src0_sel:BYTE_0 src1_sel:DWORD
	s_waitcnt lgkmcnt(0)
	s_barrier
	v_cndmask_b32_e64 v8, 0, 1, s[2:3]
	v_cmp_eq_u16_sdwa s[2:3], v3, v7 src0_sel:BYTE_0 src1_sel:BYTE_0
	s_nop 1
	v_cndmask_b32_e64 v10, 0, 1, s[2:3]
	v_cmp_eq_u16_sdwa s[2:3], v4, v6 src0_sel:DWORD src1_sel:BYTE_0
	v_add_u16_e32 v6, v3, v10
	v_add_u16_sdwa v3, v3, v8 dst_sel:DWORD dst_unused:UNUSED_PAD src0_sel:WORD_1 src1_sel:DWORD
	v_cndmask_b32_e64 v11, 0, 1, s[2:3]
	v_add_u16_e32 v5, v6, v5
	v_add_u16_e32 v6, v7, v10
	;; [unrolled: 1-line block ×6, first 2 shown]
	v_lshlrev_b16_e32 v3, 8, v6
	v_lshlrev_b16_e32 v8, 8, v4
	v_or_b32_sdwa v3, v5, v3 dst_sel:DWORD dst_unused:UNUSED_PAD src0_sel:BYTE_0 src1_sel:DWORD
	v_or_b32_sdwa v8, v7, v8 dst_sel:WORD_1 dst_unused:UNUSED_PAD src0_sel:BYTE_0 src1_sel:DWORD
	s_nop 0
	v_or_b32_sdwa v3, v3, v8 dst_sel:DWORD dst_unused:UNUSED_PAD src0_sel:WORD_0 src1_sel:DWORD
	s_cbranch_scc0 .LBB108_6
.LBB108_2:                              ; =>This Inner Loop Header: Depth=1
	v_lshrrev_b32_e32 v4, 24, v3
	v_mov_b32_e32 v5, 0x7b
	ds_write_b8 v0, v4
	s_waitcnt lgkmcnt(0)
	s_barrier
	s_and_saveexec_b64 s[2:3], vcc
	s_cbranch_execz .LBB108_4
; %bb.3:                                ;   in Loop: Header=BB108_2 Depth=1
	ds_read_u8 v5, v2
.LBB108_4:                              ;   in Loop: Header=BB108_2 Depth=1
	s_or_b64 exec, exec, s[2:3]
	v_mov_b32_e32 v6, 0xea
	ds_write_b8 v0, v3 offset:256
	s_waitcnt lgkmcnt(0)
	s_barrier
	s_and_saveexec_b64 s[2:3], s[0:1]
	s_cbranch_execz .LBB108_1
; %bb.5:                                ;   in Loop: Header=BB108_2 Depth=1
	ds_read_u8 v6, v0 offset:257
	s_branch .LBB108_1
.LBB108_6:
	s_add_u32 s0, s6, s8
	s_addc_u32 s1, s7, 0
	v_lshl_add_u64 v[0:1], s[0:1], 0, v[0:1]
	global_store_byte v[0:1], v5, off
	global_store_byte v[0:1], v6, off offset:256
	global_store_byte v[0:1], v7, off offset:512
	;; [unrolled: 1-line block ×3, first 2 shown]
	s_endpgm
	.section	.rodata,"a",@progbits
	.p2align	6, 0x0
	.amdhsa_kernel _Z6kernelI20flag_heads_and_tailshLj256ELj4ELb1ELj100EEvPKT0_PS1_
		.amdhsa_group_segment_fixed_size 512
		.amdhsa_private_segment_fixed_size 0
		.amdhsa_kernarg_size 16
		.amdhsa_user_sgpr_count 2
		.amdhsa_user_sgpr_dispatch_ptr 0
		.amdhsa_user_sgpr_queue_ptr 0
		.amdhsa_user_sgpr_kernarg_segment_ptr 1
		.amdhsa_user_sgpr_dispatch_id 0
		.amdhsa_user_sgpr_kernarg_preload_length 0
		.amdhsa_user_sgpr_kernarg_preload_offset 0
		.amdhsa_user_sgpr_private_segment_size 0
		.amdhsa_uses_dynamic_stack 0
		.amdhsa_enable_private_segment 0
		.amdhsa_system_sgpr_workgroup_id_x 1
		.amdhsa_system_sgpr_workgroup_id_y 0
		.amdhsa_system_sgpr_workgroup_id_z 0
		.amdhsa_system_sgpr_workgroup_info 0
		.amdhsa_system_vgpr_workitem_id 0
		.amdhsa_next_free_vgpr 12
		.amdhsa_next_free_sgpr 9
		.amdhsa_accum_offset 12
		.amdhsa_reserve_vcc 1
		.amdhsa_float_round_mode_32 0
		.amdhsa_float_round_mode_16_64 0
		.amdhsa_float_denorm_mode_32 3
		.amdhsa_float_denorm_mode_16_64 3
		.amdhsa_dx10_clamp 1
		.amdhsa_ieee_mode 1
		.amdhsa_fp16_overflow 0
		.amdhsa_tg_split 0
		.amdhsa_exception_fp_ieee_invalid_op 0
		.amdhsa_exception_fp_denorm_src 0
		.amdhsa_exception_fp_ieee_div_zero 0
		.amdhsa_exception_fp_ieee_overflow 0
		.amdhsa_exception_fp_ieee_underflow 0
		.amdhsa_exception_fp_ieee_inexact 0
		.amdhsa_exception_int_div_zero 0
	.end_amdhsa_kernel
	.section	.text._Z6kernelI20flag_heads_and_tailshLj256ELj4ELb1ELj100EEvPKT0_PS1_,"axG",@progbits,_Z6kernelI20flag_heads_and_tailshLj256ELj4ELb1ELj100EEvPKT0_PS1_,comdat
.Lfunc_end108:
	.size	_Z6kernelI20flag_heads_and_tailshLj256ELj4ELb1ELj100EEvPKT0_PS1_, .Lfunc_end108-_Z6kernelI20flag_heads_and_tailshLj256ELj4ELb1ELj100EEvPKT0_PS1_
                                        ; -- End function
	.section	.AMDGPU.csdata,"",@progbits
; Kernel info:
; codeLenInByte = 472
; NumSgprs: 15
; NumVgprs: 12
; NumAgprs: 0
; TotalNumVgprs: 12
; ScratchSize: 0
; MemoryBound: 0
; FloatMode: 240
; IeeeMode: 1
; LDSByteSize: 512 bytes/workgroup (compile time only)
; SGPRBlocks: 1
; VGPRBlocks: 1
; NumSGPRsForWavesPerEU: 15
; NumVGPRsForWavesPerEU: 12
; AccumOffset: 12
; Occupancy: 8
; WaveLimiterHint : 1
; COMPUTE_PGM_RSRC2:SCRATCH_EN: 0
; COMPUTE_PGM_RSRC2:USER_SGPR: 2
; COMPUTE_PGM_RSRC2:TRAP_HANDLER: 0
; COMPUTE_PGM_RSRC2:TGID_X_EN: 1
; COMPUTE_PGM_RSRC2:TGID_Y_EN: 0
; COMPUTE_PGM_RSRC2:TGID_Z_EN: 0
; COMPUTE_PGM_RSRC2:TIDIG_COMP_CNT: 0
; COMPUTE_PGM_RSRC3_GFX90A:ACCUM_OFFSET: 2
; COMPUTE_PGM_RSRC3_GFX90A:TG_SPLIT: 0
	.section	.text._Z6kernelI20flag_heads_and_tailshLj256ELj8ELb1ELj100EEvPKT0_PS1_,"axG",@progbits,_Z6kernelI20flag_heads_and_tailshLj256ELj8ELb1ELj100EEvPKT0_PS1_,comdat
	.protected	_Z6kernelI20flag_heads_and_tailshLj256ELj8ELb1ELj100EEvPKT0_PS1_ ; -- Begin function _Z6kernelI20flag_heads_and_tailshLj256ELj8ELb1ELj100EEvPKT0_PS1_
	.globl	_Z6kernelI20flag_heads_and_tailshLj256ELj8ELb1ELj100EEvPKT0_PS1_
	.p2align	8
	.type	_Z6kernelI20flag_heads_and_tailshLj256ELj8ELb1ELj100EEvPKT0_PS1_,@function
_Z6kernelI20flag_heads_and_tailshLj256ELj8ELb1ELj100EEvPKT0_PS1_: ; @_Z6kernelI20flag_heads_and_tailshLj256ELj8ELb1ELj100EEvPKT0_PS1_
; %bb.0:
	s_load_dwordx4 s[4:7], s[0:1], 0x0
	s_lshl_b32 s8, s2, 11
	v_mov_b32_e32 v1, 0
	v_cmp_ne_u32_e32 vcc, 0, v0
	v_add_u32_e32 v4, -1, v0
	s_waitcnt lgkmcnt(0)
	s_add_u32 s0, s4, s8
	s_addc_u32 s1, s5, 0
	global_load_ubyte v2, v0, s[0:1] offset:256
	global_load_ubyte v3, v0, s[0:1] offset:768
	;; [unrolled: 1-line block ×4, first 2 shown]
	global_load_ubyte v7, v0, s[0:1]
	global_load_ubyte v8, v0, s[0:1] offset:512
	global_load_ubyte v9, v0, s[0:1] offset:1024
	;; [unrolled: 1-line block ×3, first 2 shown]
	s_movk_i32 s4, 0xff
	v_cmp_ne_u32_e64 s[0:1], s4, v0
	s_movk_i32 s5, 0x64
	s_waitcnt vmcnt(7)
	v_lshlrev_b16_e32 v2, 8, v2
	s_waitcnt vmcnt(6)
	v_lshlrev_b16_e32 v3, 8, v3
	;; [unrolled: 2-line block ×4, first 2 shown]
	s_waitcnt vmcnt(3)
	v_or_b32_e32 v2, v7, v2
	s_waitcnt vmcnt(2)
	v_or_b32_sdwa v3, v8, v3 dst_sel:WORD_1 dst_unused:UNUSED_PAD src0_sel:DWORD src1_sel:DWORD
	s_waitcnt vmcnt(1)
	v_or_b32_e32 v5, v9, v5
	s_waitcnt vmcnt(0)
	v_or_b32_sdwa v6, v10, v6 dst_sel:WORD_1 dst_unused:UNUSED_PAD src0_sel:DWORD src1_sel:DWORD
	v_or_b32_sdwa v2, v2, v3 dst_sel:DWORD dst_unused:UNUSED_PAD src0_sel:WORD_0 src1_sel:DWORD
	v_or_b32_sdwa v3, v5, v6 dst_sel:DWORD dst_unused:UNUSED_PAD src0_sel:WORD_0 src1_sel:DWORD
	s_branch .LBB109_2
.LBB109_1:                              ;   in Loop: Header=BB109_2 Depth=1
	s_or_b64 exec, exec, s[2:3]
	v_cmp_eq_u16_sdwa s[2:3], v7, v2 src0_sel:BYTE_0 src1_sel:BYTE_0
	v_lshrrev_b64 v[10:11], 24, v[2:3]
	v_and_b32_sdwa v12, v3, s4 dst_sel:DWORD dst_unused:UNUSED_PAD src0_sel:WORD_1 src1_sel:DWORD
	v_cndmask_b32_e64 v7, 0, 1, s[2:3]
	v_lshrrev_b32_e32 v11, 8, v3
	v_cmp_eq_u16_e64 s[2:3], v12, v5
	v_and_b32_sdwa v9, v2, s4 dst_sel:DWORD dst_unused:UNUSED_PAD src0_sel:WORD_1 src1_sel:DWORD
	v_lshrrev_b32_e32 v8, 8, v2
	v_cndmask_b32_e64 v13, 0, 1, s[2:3]
	v_cmp_eq_u16_sdwa s[2:3], v11, v12 src0_sel:BYTE_0 src1_sel:DWORD
	s_add_i32 s5, s5, -1
	s_cmp_lg_u32 s5, 0
	v_cndmask_b32_e64 v12, 0, 1, s[2:3]
	v_cmp_eq_u16_sdwa s[2:3], v3, v11 src0_sel:BYTE_0 src1_sel:BYTE_0
	s_waitcnt lgkmcnt(0)
	s_barrier
	v_cndmask_b32_e64 v14, 0, 1, s[2:3]
	v_cmp_eq_u16_sdwa s[2:3], v10, v3 src0_sel:BYTE_0 src1_sel:BYTE_0
	s_nop 1
	v_cndmask_b32_e64 v15, 0, 1, s[2:3]
	v_cmp_eq_u16_sdwa s[2:3], v9, v10 src0_sel:DWORD src1_sel:BYTE_0
	s_nop 1
	v_cndmask_b32_e64 v16, 0, 1, s[2:3]
	v_cmp_eq_u16_sdwa s[2:3], v8, v9 src0_sel:BYTE_0 src1_sel:DWORD
	s_nop 1
	v_cndmask_b32_e64 v9, 0, 1, s[2:3]
	v_cmp_eq_u16_sdwa s[2:3], v2, v8 src0_sel:BYTE_0 src1_sel:BYTE_0
	s_nop 1
	v_cndmask_b32_e64 v17, 0, 1, s[2:3]
	v_cmp_eq_u16_sdwa s[2:3], v5, v6 src0_sel:DWORD src1_sel:BYTE_0
	v_add_u16_e32 v6, v2, v17
	v_add_u16_sdwa v2, v2, v9 dst_sel:DWORD dst_unused:UNUSED_PAD src0_sel:WORD_1 src1_sel:DWORD
	v_add_u16_e32 v6, v6, v7
	v_add_u16_e32 v7, v8, v17
	;; [unrolled: 1-line block ×10, first 2 shown]
	v_add_u16_sdwa v2, v3, v12 dst_sel:DWORD dst_unused:UNUSED_PAD src0_sel:WORD_1 src1_sel:DWORD
	v_cndmask_b32_e64 v18, 0, 1, s[2:3]
	v_add_u16_e32 v12, v2, v13
	v_add_u16_e32 v2, v5, v13
	;; [unrolled: 1-line block ×3, first 2 shown]
	v_lshlrev_b16_e32 v2, 8, v7
	v_lshlrev_b16_e32 v3, 8, v9
	v_or_b32_sdwa v2, v6, v2 dst_sel:DWORD dst_unused:UNUSED_PAD src0_sel:BYTE_0 src1_sel:DWORD
	v_or_b32_sdwa v3, v8, v3 dst_sel:WORD_1 dst_unused:UNUSED_PAD src0_sel:BYTE_0 src1_sel:DWORD
	v_lshlrev_b16_e32 v13, 8, v5
	v_or_b32_sdwa v2, v2, v3 dst_sel:DWORD dst_unused:UNUSED_PAD src0_sel:WORD_0 src1_sel:DWORD
	v_lshlrev_b16_e32 v3, 8, v11
	v_or_b32_sdwa v3, v10, v3 dst_sel:DWORD dst_unused:UNUSED_PAD src0_sel:BYTE_0 src1_sel:DWORD
	v_or_b32_sdwa v13, v12, v13 dst_sel:WORD_1 dst_unused:UNUSED_PAD src0_sel:BYTE_0 src1_sel:DWORD
	s_nop 0
	v_or_b32_sdwa v3, v3, v13 dst_sel:DWORD dst_unused:UNUSED_PAD src0_sel:WORD_0 src1_sel:DWORD
	s_cbranch_scc0 .LBB109_6
.LBB109_2:                              ; =>This Inner Loop Header: Depth=1
	v_lshrrev_b32_e32 v5, 24, v3
	v_mov_b32_e32 v7, 0x7b
	ds_write_b8 v0, v5
	s_waitcnt lgkmcnt(0)
	s_barrier
	s_and_saveexec_b64 s[2:3], vcc
	s_cbranch_execz .LBB109_4
; %bb.3:                                ;   in Loop: Header=BB109_2 Depth=1
	ds_read_u8 v7, v4
.LBB109_4:                              ;   in Loop: Header=BB109_2 Depth=1
	s_or_b64 exec, exec, s[2:3]
	v_mov_b32_e32 v6, 0xea
	ds_write_b8 v0, v2 offset:256
	s_waitcnt lgkmcnt(0)
	s_barrier
	s_and_saveexec_b64 s[2:3], s[0:1]
	s_cbranch_execz .LBB109_1
; %bb.5:                                ;   in Loop: Header=BB109_2 Depth=1
	ds_read_u8 v6, v0 offset:257
	s_branch .LBB109_1
.LBB109_6:
	s_add_u32 s0, s6, s8
	s_addc_u32 s1, s7, 0
	v_lshl_add_u64 v[0:1], s[0:1], 0, v[0:1]
	global_store_byte v[0:1], v6, off
	global_store_byte v[0:1], v7, off offset:256
	global_store_byte v[0:1], v8, off offset:512
	;; [unrolled: 1-line block ×7, first 2 shown]
	s_endpgm
	.section	.rodata,"a",@progbits
	.p2align	6, 0x0
	.amdhsa_kernel _Z6kernelI20flag_heads_and_tailshLj256ELj8ELb1ELj100EEvPKT0_PS1_
		.amdhsa_group_segment_fixed_size 512
		.amdhsa_private_segment_fixed_size 0
		.amdhsa_kernarg_size 16
		.amdhsa_user_sgpr_count 2
		.amdhsa_user_sgpr_dispatch_ptr 0
		.amdhsa_user_sgpr_queue_ptr 0
		.amdhsa_user_sgpr_kernarg_segment_ptr 1
		.amdhsa_user_sgpr_dispatch_id 0
		.amdhsa_user_sgpr_kernarg_preload_length 0
		.amdhsa_user_sgpr_kernarg_preload_offset 0
		.amdhsa_user_sgpr_private_segment_size 0
		.amdhsa_uses_dynamic_stack 0
		.amdhsa_enable_private_segment 0
		.amdhsa_system_sgpr_workgroup_id_x 1
		.amdhsa_system_sgpr_workgroup_id_y 0
		.amdhsa_system_sgpr_workgroup_id_z 0
		.amdhsa_system_sgpr_workgroup_info 0
		.amdhsa_system_vgpr_workitem_id 0
		.amdhsa_next_free_vgpr 19
		.amdhsa_next_free_sgpr 9
		.amdhsa_accum_offset 20
		.amdhsa_reserve_vcc 1
		.amdhsa_float_round_mode_32 0
		.amdhsa_float_round_mode_16_64 0
		.amdhsa_float_denorm_mode_32 3
		.amdhsa_float_denorm_mode_16_64 3
		.amdhsa_dx10_clamp 1
		.amdhsa_ieee_mode 1
		.amdhsa_fp16_overflow 0
		.amdhsa_tg_split 0
		.amdhsa_exception_fp_ieee_invalid_op 0
		.amdhsa_exception_fp_denorm_src 0
		.amdhsa_exception_fp_ieee_div_zero 0
		.amdhsa_exception_fp_ieee_overflow 0
		.amdhsa_exception_fp_ieee_underflow 0
		.amdhsa_exception_fp_ieee_inexact 0
		.amdhsa_exception_int_div_zero 0
	.end_amdhsa_kernel
	.section	.text._Z6kernelI20flag_heads_and_tailshLj256ELj8ELb1ELj100EEvPKT0_PS1_,"axG",@progbits,_Z6kernelI20flag_heads_and_tailshLj256ELj8ELb1ELj100EEvPKT0_PS1_,comdat
.Lfunc_end109:
	.size	_Z6kernelI20flag_heads_and_tailshLj256ELj8ELb1ELj100EEvPKT0_PS1_, .Lfunc_end109-_Z6kernelI20flag_heads_and_tailshLj256ELj8ELb1ELj100EEvPKT0_PS1_
                                        ; -- End function
	.section	.AMDGPU.csdata,"",@progbits
; Kernel info:
; codeLenInByte = 740
; NumSgprs: 15
; NumVgprs: 19
; NumAgprs: 0
; TotalNumVgprs: 19
; ScratchSize: 0
; MemoryBound: 0
; FloatMode: 240
; IeeeMode: 1
; LDSByteSize: 512 bytes/workgroup (compile time only)
; SGPRBlocks: 1
; VGPRBlocks: 2
; NumSGPRsForWavesPerEU: 15
; NumVGPRsForWavesPerEU: 19
; AccumOffset: 20
; Occupancy: 8
; WaveLimiterHint : 1
; COMPUTE_PGM_RSRC2:SCRATCH_EN: 0
; COMPUTE_PGM_RSRC2:USER_SGPR: 2
; COMPUTE_PGM_RSRC2:TRAP_HANDLER: 0
; COMPUTE_PGM_RSRC2:TGID_X_EN: 1
; COMPUTE_PGM_RSRC2:TGID_Y_EN: 0
; COMPUTE_PGM_RSRC2:TGID_Z_EN: 0
; COMPUTE_PGM_RSRC2:TIDIG_COMP_CNT: 0
; COMPUTE_PGM_RSRC3_GFX90A:ACCUM_OFFSET: 4
; COMPUTE_PGM_RSRC3_GFX90A:TG_SPLIT: 0
	.section	.text._Z6kernelI20flag_heads_and_tailsxLj256ELj1ELb0ELj100EEvPKT0_PS1_,"axG",@progbits,_Z6kernelI20flag_heads_and_tailsxLj256ELj1ELb0ELj100EEvPKT0_PS1_,comdat
	.protected	_Z6kernelI20flag_heads_and_tailsxLj256ELj1ELb0ELj100EEvPKT0_PS1_ ; -- Begin function _Z6kernelI20flag_heads_and_tailsxLj256ELj1ELb0ELj100EEvPKT0_PS1_
	.globl	_Z6kernelI20flag_heads_and_tailsxLj256ELj1ELb0ELj100EEvPKT0_PS1_
	.p2align	8
	.type	_Z6kernelI20flag_heads_and_tailsxLj256ELj1ELb0ELj100EEvPKT0_PS1_,@function
_Z6kernelI20flag_heads_and_tailsxLj256ELj1ELb0ELj100EEvPKT0_PS1_: ; @_Z6kernelI20flag_heads_and_tailsxLj256ELj1ELb0ELj100EEvPKT0_PS1_
; %bb.0:
	s_load_dwordx4 s[4:7], s[0:1], 0x0
	s_lshl_b32 s8, s2, 8
	s_mov_b32 s9, 0
	s_lshl_b64 s[10:11], s[8:9], 3
	v_lshlrev_b32_e32 v1, 3, v0
	s_waitcnt lgkmcnt(0)
	s_add_u32 s0, s4, s10
	s_addc_u32 s1, s5, s11
	global_load_dwordx2 v[2:3], v1, s[0:1]
	s_movk_i32 s0, 0xff
	v_cmp_ne_u32_e32 vcc, 0, v0
	v_cmp_ne_u32_e64 s[0:1], s0, v0
	v_add_u32_e32 v8, -8, v1
	v_or_b32_e32 v9, 0x800, v1
	s_movk_i32 s8, 0x64
	s_branch .LBB110_2
.LBB110_1:                              ;   in Loop: Header=BB110_2 Depth=1
	s_or_b64 exec, exec, s[4:5]
	v_lshl_add_u64 v[2:3], v[6:7], 0, v[2:3]
	s_add_i32 s8, s8, -1
	v_lshl_add_u64 v[2:3], v[2:3], 0, v[4:5]
	s_cmp_lg_u32 s8, 0
	s_barrier
	s_cbranch_scc0 .LBB110_6
.LBB110_2:                              ; =>This Inner Loop Header: Depth=1
	v_mov_b64_e32 v[4:5], 1
	v_mov_b64_e32 v[6:7], v[4:5]
	s_waitcnt vmcnt(0)
	ds_write_b64 v1, v[2:3]
	s_waitcnt lgkmcnt(0)
	s_barrier
	s_and_saveexec_b64 s[4:5], vcc
	s_cbranch_execz .LBB110_4
; %bb.3:                                ;   in Loop: Header=BB110_2 Depth=1
	ds_read_b64 v[6:7], v8
	s_waitcnt lgkmcnt(0)
	v_cmp_eq_u64_e64 s[2:3], v[6:7], v[2:3]
	s_nop 1
	v_cndmask_b32_e64 v6, 0, 1, s[2:3]
	v_mov_b32_e32 v7, s9
.LBB110_4:                              ;   in Loop: Header=BB110_2 Depth=1
	s_or_b64 exec, exec, s[4:5]
	ds_write_b64 v1, v[2:3] offset:2048
	s_waitcnt lgkmcnt(0)
	s_barrier
	s_and_saveexec_b64 s[4:5], s[0:1]
	s_cbranch_execz .LBB110_1
; %bb.5:                                ;   in Loop: Header=BB110_2 Depth=1
	ds_read_b64 v[4:5], v9 offset:8
	s_waitcnt lgkmcnt(0)
	v_cmp_eq_u64_e64 s[2:3], v[4:5], v[2:3]
	s_nop 1
	v_cndmask_b32_e64 v4, 0, 1, s[2:3]
	v_mov_b32_e32 v5, s9
	s_branch .LBB110_1
.LBB110_6:
	s_add_u32 s0, s6, s10
	s_addc_u32 s1, s7, s11
	v_lshlrev_b32_e32 v0, 3, v0
	global_store_dwordx2 v0, v[2:3], s[0:1]
	s_endpgm
	.section	.rodata,"a",@progbits
	.p2align	6, 0x0
	.amdhsa_kernel _Z6kernelI20flag_heads_and_tailsxLj256ELj1ELb0ELj100EEvPKT0_PS1_
		.amdhsa_group_segment_fixed_size 4096
		.amdhsa_private_segment_fixed_size 0
		.amdhsa_kernarg_size 16
		.amdhsa_user_sgpr_count 2
		.amdhsa_user_sgpr_dispatch_ptr 0
		.amdhsa_user_sgpr_queue_ptr 0
		.amdhsa_user_sgpr_kernarg_segment_ptr 1
		.amdhsa_user_sgpr_dispatch_id 0
		.amdhsa_user_sgpr_kernarg_preload_length 0
		.amdhsa_user_sgpr_kernarg_preload_offset 0
		.amdhsa_user_sgpr_private_segment_size 0
		.amdhsa_uses_dynamic_stack 0
		.amdhsa_enable_private_segment 0
		.amdhsa_system_sgpr_workgroup_id_x 1
		.amdhsa_system_sgpr_workgroup_id_y 0
		.amdhsa_system_sgpr_workgroup_id_z 0
		.amdhsa_system_sgpr_workgroup_info 0
		.amdhsa_system_vgpr_workitem_id 0
		.amdhsa_next_free_vgpr 10
		.amdhsa_next_free_sgpr 12
		.amdhsa_accum_offset 12
		.amdhsa_reserve_vcc 1
		.amdhsa_float_round_mode_32 0
		.amdhsa_float_round_mode_16_64 0
		.amdhsa_float_denorm_mode_32 3
		.amdhsa_float_denorm_mode_16_64 3
		.amdhsa_dx10_clamp 1
		.amdhsa_ieee_mode 1
		.amdhsa_fp16_overflow 0
		.amdhsa_tg_split 0
		.amdhsa_exception_fp_ieee_invalid_op 0
		.amdhsa_exception_fp_denorm_src 0
		.amdhsa_exception_fp_ieee_div_zero 0
		.amdhsa_exception_fp_ieee_overflow 0
		.amdhsa_exception_fp_ieee_underflow 0
		.amdhsa_exception_fp_ieee_inexact 0
		.amdhsa_exception_int_div_zero 0
	.end_amdhsa_kernel
	.section	.text._Z6kernelI20flag_heads_and_tailsxLj256ELj1ELb0ELj100EEvPKT0_PS1_,"axG",@progbits,_Z6kernelI20flag_heads_and_tailsxLj256ELj1ELb0ELj100EEvPKT0_PS1_,comdat
.Lfunc_end110:
	.size	_Z6kernelI20flag_heads_and_tailsxLj256ELj1ELb0ELj100EEvPKT0_PS1_, .Lfunc_end110-_Z6kernelI20flag_heads_and_tailsxLj256ELj1ELb0ELj100EEvPKT0_PS1_
                                        ; -- End function
	.section	.AMDGPU.csdata,"",@progbits
; Kernel info:
; codeLenInByte = 280
; NumSgprs: 18
; NumVgprs: 10
; NumAgprs: 0
; TotalNumVgprs: 10
; ScratchSize: 0
; MemoryBound: 0
; FloatMode: 240
; IeeeMode: 1
; LDSByteSize: 4096 bytes/workgroup (compile time only)
; SGPRBlocks: 2
; VGPRBlocks: 1
; NumSGPRsForWavesPerEU: 18
; NumVGPRsForWavesPerEU: 10
; AccumOffset: 12
; Occupancy: 8
; WaveLimiterHint : 0
; COMPUTE_PGM_RSRC2:SCRATCH_EN: 0
; COMPUTE_PGM_RSRC2:USER_SGPR: 2
; COMPUTE_PGM_RSRC2:TRAP_HANDLER: 0
; COMPUTE_PGM_RSRC2:TGID_X_EN: 1
; COMPUTE_PGM_RSRC2:TGID_Y_EN: 0
; COMPUTE_PGM_RSRC2:TGID_Z_EN: 0
; COMPUTE_PGM_RSRC2:TIDIG_COMP_CNT: 0
; COMPUTE_PGM_RSRC3_GFX90A:ACCUM_OFFSET: 2
; COMPUTE_PGM_RSRC3_GFX90A:TG_SPLIT: 0
	.section	.text._Z6kernelI20flag_heads_and_tailsxLj256ELj2ELb0ELj100EEvPKT0_PS1_,"axG",@progbits,_Z6kernelI20flag_heads_and_tailsxLj256ELj2ELb0ELj100EEvPKT0_PS1_,comdat
	.protected	_Z6kernelI20flag_heads_and_tailsxLj256ELj2ELb0ELj100EEvPKT0_PS1_ ; -- Begin function _Z6kernelI20flag_heads_and_tailsxLj256ELj2ELb0ELj100EEvPKT0_PS1_
	.globl	_Z6kernelI20flag_heads_and_tailsxLj256ELj2ELb0ELj100EEvPKT0_PS1_
	.p2align	8
	.type	_Z6kernelI20flag_heads_and_tailsxLj256ELj2ELb0ELj100EEvPKT0_PS1_,@function
_Z6kernelI20flag_heads_and_tailsxLj256ELj2ELb0ELj100EEvPKT0_PS1_: ; @_Z6kernelI20flag_heads_and_tailsxLj256ELj2ELb0ELj100EEvPKT0_PS1_
; %bb.0:
	s_load_dwordx4 s[4:7], s[0:1], 0x0
	s_lshl_b32 s0, s2, 9
	s_mov_b32 s1, 0
	s_lshl_b64 s[8:9], s[0:1], 3
	v_lshlrev_b32_e32 v1, 3, v0
	s_waitcnt lgkmcnt(0)
	s_add_u32 s0, s4, s8
	s_addc_u32 s1, s5, s9
	global_load_dwordx2 v[2:3], v1, s[0:1]
	global_load_dwordx2 v[4:5], v1, s[0:1] offset:2048
	s_movk_i32 s0, 0xff
	v_mov_b32_e32 v7, 0
	v_cmp_ne_u32_e32 vcc, 0, v0
	v_cmp_ne_u32_e64 s[0:1], s0, v0
	v_add_u32_e32 v8, -8, v1
	v_or_b32_e32 v9, 0x800, v1
	s_movk_i32 s10, 0x64
	s_branch .LBB111_2
.LBB111_1:                              ;   in Loop: Header=BB111_2 Depth=1
	s_or_b64 exec, exec, s[4:5]
	v_and_b32_e32 v6, 0xff, v10
	v_lshl_add_u64 v[2:3], v[2:3], 0, v[6:7]
	v_and_b32_e32 v6, 0xff, v11
	v_lshl_add_u64 v[2:3], v[2:3], 0, v[6:7]
	v_lshrrev_b16_e32 v6, 8, v10
	v_lshl_add_u64 v[4:5], v[4:5], 0, v[6:7]
	v_lshrrev_b16_e32 v6, 8, v11
	s_add_i32 s10, s10, -1
	v_lshl_add_u64 v[4:5], v[4:5], 0, v[6:7]
	s_cmp_lg_u32 s10, 0
	s_barrier
	s_cbranch_scc0 .LBB111_6
.LBB111_2:                              ; =>This Inner Loop Header: Depth=1
	s_waitcnt vmcnt(0)
	v_cmp_eq_u64_e64 s[2:3], v[2:3], v[4:5]
	ds_write_b64 v1, v[4:5]
	s_waitcnt lgkmcnt(0)
	v_cndmask_b32_e64 v6, 0, 1, s[2:3]
	v_lshlrev_b16_e32 v10, 8, v6
	v_or_b32_e32 v10, 1, v10
	v_and_b32_e32 v10, 0xffff, v10
	s_barrier
	s_and_saveexec_b64 s[4:5], vcc
	s_cbranch_execz .LBB111_4
; %bb.3:                                ;   in Loop: Header=BB111_2 Depth=1
	ds_read_b64 v[12:13], v8
	v_and_b32_e32 v10, 0x100, v10
	s_waitcnt lgkmcnt(0)
	v_cmp_eq_u64_e64 s[2:3], v[12:13], v[2:3]
	s_nop 1
	v_cndmask_b32_e64 v11, 0, 1, s[2:3]
	v_or_b32_e32 v10, v11, v10
	v_and_b32_e32 v10, 0xffff, v10
.LBB111_4:                              ;   in Loop: Header=BB111_2 Depth=1
	s_or_b64 exec, exec, s[4:5]
	v_or_b32_e32 v6, 0x100, v6
	v_and_b32_e32 v11, 0xffff, v6
	ds_write_b64 v1, v[2:3] offset:2048
	s_waitcnt lgkmcnt(0)
	s_barrier
	s_and_saveexec_b64 s[4:5], s[0:1]
	s_cbranch_execz .LBB111_1
; %bb.5:                                ;   in Loop: Header=BB111_2 Depth=1
	ds_read_b64 v[12:13], v9 offset:8
	s_waitcnt lgkmcnt(0)
	v_cmp_eq_u64_e64 s[2:3], v[12:13], v[4:5]
	s_nop 1
	v_cndmask_b32_e64 v6, 0, 1, s[2:3]
	v_lshlrev_b16_e32 v6, 8, v6
	v_or_b32_sdwa v6, v11, v6 dst_sel:DWORD dst_unused:UNUSED_PAD src0_sel:BYTE_0 src1_sel:DWORD
	v_and_b32_e32 v11, 0xffff, v6
	s_branch .LBB111_1
.LBB111_6:
	s_add_u32 s0, s6, s8
	s_addc_u32 s1, s7, s9
	v_lshlrev_b32_e32 v0, 3, v0
	global_store_dwordx2 v0, v[2:3], s[0:1]
	global_store_dwordx2 v0, v[4:5], s[0:1] offset:2048
	s_endpgm
	.section	.rodata,"a",@progbits
	.p2align	6, 0x0
	.amdhsa_kernel _Z6kernelI20flag_heads_and_tailsxLj256ELj2ELb0ELj100EEvPKT0_PS1_
		.amdhsa_group_segment_fixed_size 4096
		.amdhsa_private_segment_fixed_size 0
		.amdhsa_kernarg_size 16
		.amdhsa_user_sgpr_count 2
		.amdhsa_user_sgpr_dispatch_ptr 0
		.amdhsa_user_sgpr_queue_ptr 0
		.amdhsa_user_sgpr_kernarg_segment_ptr 1
		.amdhsa_user_sgpr_dispatch_id 0
		.amdhsa_user_sgpr_kernarg_preload_length 0
		.amdhsa_user_sgpr_kernarg_preload_offset 0
		.amdhsa_user_sgpr_private_segment_size 0
		.amdhsa_uses_dynamic_stack 0
		.amdhsa_enable_private_segment 0
		.amdhsa_system_sgpr_workgroup_id_x 1
		.amdhsa_system_sgpr_workgroup_id_y 0
		.amdhsa_system_sgpr_workgroup_id_z 0
		.amdhsa_system_sgpr_workgroup_info 0
		.amdhsa_system_vgpr_workitem_id 0
		.amdhsa_next_free_vgpr 14
		.amdhsa_next_free_sgpr 11
		.amdhsa_accum_offset 16
		.amdhsa_reserve_vcc 1
		.amdhsa_float_round_mode_32 0
		.amdhsa_float_round_mode_16_64 0
		.amdhsa_float_denorm_mode_32 3
		.amdhsa_float_denorm_mode_16_64 3
		.amdhsa_dx10_clamp 1
		.amdhsa_ieee_mode 1
		.amdhsa_fp16_overflow 0
		.amdhsa_tg_split 0
		.amdhsa_exception_fp_ieee_invalid_op 0
		.amdhsa_exception_fp_denorm_src 0
		.amdhsa_exception_fp_ieee_div_zero 0
		.amdhsa_exception_fp_ieee_overflow 0
		.amdhsa_exception_fp_ieee_underflow 0
		.amdhsa_exception_fp_ieee_inexact 0
		.amdhsa_exception_int_div_zero 0
	.end_amdhsa_kernel
	.section	.text._Z6kernelI20flag_heads_and_tailsxLj256ELj2ELb0ELj100EEvPKT0_PS1_,"axG",@progbits,_Z6kernelI20flag_heads_and_tailsxLj256ELj2ELb0ELj100EEvPKT0_PS1_,comdat
.Lfunc_end111:
	.size	_Z6kernelI20flag_heads_and_tailsxLj256ELj2ELb0ELj100EEvPKT0_PS1_, .Lfunc_end111-_Z6kernelI20flag_heads_and_tailsxLj256ELj2ELb0ELj100EEvPKT0_PS1_
                                        ; -- End function
	.section	.AMDGPU.csdata,"",@progbits
; Kernel info:
; codeLenInByte = 412
; NumSgprs: 17
; NumVgprs: 14
; NumAgprs: 0
; TotalNumVgprs: 14
; ScratchSize: 0
; MemoryBound: 0
; FloatMode: 240
; IeeeMode: 1
; LDSByteSize: 4096 bytes/workgroup (compile time only)
; SGPRBlocks: 2
; VGPRBlocks: 1
; NumSGPRsForWavesPerEU: 17
; NumVGPRsForWavesPerEU: 14
; AccumOffset: 16
; Occupancy: 8
; WaveLimiterHint : 1
; COMPUTE_PGM_RSRC2:SCRATCH_EN: 0
; COMPUTE_PGM_RSRC2:USER_SGPR: 2
; COMPUTE_PGM_RSRC2:TRAP_HANDLER: 0
; COMPUTE_PGM_RSRC2:TGID_X_EN: 1
; COMPUTE_PGM_RSRC2:TGID_Y_EN: 0
; COMPUTE_PGM_RSRC2:TGID_Z_EN: 0
; COMPUTE_PGM_RSRC2:TIDIG_COMP_CNT: 0
; COMPUTE_PGM_RSRC3_GFX90A:ACCUM_OFFSET: 3
; COMPUTE_PGM_RSRC3_GFX90A:TG_SPLIT: 0
	.section	.text._Z6kernelI20flag_heads_and_tailsxLj256ELj3ELb0ELj100EEvPKT0_PS1_,"axG",@progbits,_Z6kernelI20flag_heads_and_tailsxLj256ELj3ELb0ELj100EEvPKT0_PS1_,comdat
	.protected	_Z6kernelI20flag_heads_and_tailsxLj256ELj3ELb0ELj100EEvPKT0_PS1_ ; -- Begin function _Z6kernelI20flag_heads_and_tailsxLj256ELj3ELb0ELj100EEvPKT0_PS1_
	.globl	_Z6kernelI20flag_heads_and_tailsxLj256ELj3ELb0ELj100EEvPKT0_PS1_
	.p2align	8
	.type	_Z6kernelI20flag_heads_and_tailsxLj256ELj3ELb0ELj100EEvPKT0_PS1_,@function
_Z6kernelI20flag_heads_and_tailsxLj256ELj3ELb0ELj100EEvPKT0_PS1_: ; @_Z6kernelI20flag_heads_and_tailsxLj256ELj3ELb0ELj100EEvPKT0_PS1_
; %bb.0:
	s_load_dwordx4 s[4:7], s[0:1], 0x0
	s_mul_i32 s0, s2, 0x300
	s_mov_b32 s1, 0
	s_lshl_b64 s[8:9], s[0:1], 3
	v_mov_b32_e32 v5, 0
	s_waitcnt lgkmcnt(0)
	s_add_u32 s0, s4, s8
	s_addc_u32 s1, s5, s9
	v_lshlrev_b32_e32 v8, 3, v0
	v_mov_b32_e32 v9, v5
	v_lshl_add_u64 v[6:7], s[0:1], 0, v[8:9]
	s_movk_i32 s2, 0x1000
	v_add_co_u32_e32 v12, vcc, s2, v6
	global_load_dwordx2 v[2:3], v8, s[0:1] offset:2048
	s_nop 0
	v_addc_co_u32_e32 v13, vcc, 0, v7, vcc
	global_load_dwordx2 v[10:11], v8, s[0:1]
	global_load_dwordx2 v[6:7], v[12:13], off
	s_movk_i32 s0, 0xff
	v_cmp_ne_u32_e32 vcc, 0, v0
	v_cmp_ne_u32_e64 s[0:1], s0, v0
	v_add_u32_e32 v1, -8, v8
	v_or_b32_e32 v9, 0x800, v8
	s_movk_i32 s10, 0x64
	s_mov_b32 s11, 0x10000
	v_mov_b32_e32 v12, 8
	s_branch .LBB112_2
.LBB112_1:                              ;   in Loop: Header=BB112_2 Depth=1
	s_or_b64 exec, exec, s[4:5]
	v_and_b32_e32 v4, 0xff, v13
	v_lshl_add_u64 v[10:11], v[10:11], 0, v[4:5]
	v_and_b32_e32 v4, 0xff, v14
	v_lshrrev_b32_e32 v16, 16, v13
	v_lshl_add_u64 v[10:11], v[10:11], 0, v[4:5]
	v_bfe_u32 v4, v13, 8, 8
	v_mov_b32_e32 v17, v5
	v_lshrrev_b32_e32 v18, 16, v14
	v_lshl_add_u64 v[2:3], v[2:3], 0, v[4:5]
	v_bfe_u32 v4, v14, 8, 8
	v_lshl_add_u64 v[6:7], v[6:7], 0, v[16:17]
	v_mov_b32_e32 v19, v5
	s_add_i32 s10, s10, -1
	v_lshl_add_u64 v[2:3], v[2:3], 0, v[4:5]
	v_lshl_add_u64 v[6:7], v[6:7], 0, v[18:19]
	s_cmp_lg_u32 s10, 0
	s_barrier
	s_cbranch_scc0 .LBB112_6
.LBB112_2:                              ; =>This Inner Loop Header: Depth=1
	s_waitcnt vmcnt(0)
	v_cmp_eq_u64_e64 s[2:3], v[2:3], v[6:7]
	ds_write_b64 v8, v[6:7]
	s_waitcnt lgkmcnt(0)
	v_cndmask_b32_e64 v4, 0, 1, s[2:3]
	v_cmp_eq_u64_e64 s[2:3], v[10:11], v[2:3]
	s_barrier
	s_nop 0
	v_cndmask_b32_e64 v14, 0, 1, s[2:3]
	v_lshlrev_b16_e32 v13, 8, v14
	v_or_b32_e32 v13, 1, v13
	v_and_b32_e32 v13, 0xffff, v13
	v_lshl_or_b32 v13, v4, 16, v13
	s_and_saveexec_b64 s[4:5], vcc
	s_cbranch_execz .LBB112_4
; %bb.3:                                ;   in Loop: Header=BB112_2 Depth=1
	ds_read_b64 v[16:17], v1
	s_waitcnt lgkmcnt(0)
	v_cmp_eq_u64_e64 s[2:3], v[16:17], v[10:11]
	s_nop 1
	v_cndmask_b32_e64 v15, 0, 1, s[2:3]
	v_lshrrev_b32_sdwa v16, v12, v13 dst_sel:BYTE_1 dst_unused:UNUSED_PAD src0_sel:DWORD src1_sel:DWORD
	s_nop 0
	v_or_b32_e32 v15, v15, v16
	v_and_b32_e32 v15, 0xffff, v15
	v_and_or_b32 v13, v13, s11, v15
.LBB112_4:                              ;   in Loop: Header=BB112_2 Depth=1
	s_or_b64 exec, exec, s[4:5]
	v_lshlrev_b16_e32 v4, 8, v4
	v_or_b32_e32 v4, v14, v4
	v_or_b32_sdwa v14, v4, s11 dst_sel:DWORD dst_unused:UNUSED_PAD src0_sel:WORD_0 src1_sel:DWORD
	ds_write_b64 v8, v[10:11] offset:2048
	s_waitcnt lgkmcnt(0)
	s_barrier
	s_and_saveexec_b64 s[4:5], s[0:1]
	s_cbranch_execz .LBB112_1
; %bb.5:                                ;   in Loop: Header=BB112_2 Depth=1
	ds_read_b64 v[16:17], v9 offset:8
	v_lshrrev_b32_sdwa v4, v12, v14 dst_sel:BYTE_1 dst_unused:UNUSED_PAD src0_sel:DWORD src1_sel:DWORD
	s_waitcnt lgkmcnt(0)
	v_cmp_eq_u64_e64 s[2:3], v[6:7], v[16:17]
	v_or_b32_sdwa v4, v14, v4 dst_sel:DWORD dst_unused:UNUSED_PAD src0_sel:BYTE_0 src1_sel:DWORD
	v_and_b32_e32 v4, 0xffff, v4
	v_cndmask_b32_e64 v14, 0, 1, s[2:3]
	v_lshl_or_b32 v14, v14, 16, v4
	s_branch .LBB112_1
.LBB112_6:
	s_add_u32 s0, s6, s8
	s_addc_u32 s1, s7, s9
	v_lshlrev_b32_e32 v0, 3, v0
	v_mov_b32_e32 v1, 0
	v_lshl_add_u64 v[4:5], s[0:1], 0, v[0:1]
	global_store_dwordx2 v0, v[10:11], s[0:1]
	global_store_dwordx2 v0, v[2:3], s[0:1] offset:2048
	v_add_co_u32_e32 v0, vcc, 0x1000, v4
	s_nop 1
	v_addc_co_u32_e32 v1, vcc, 0, v5, vcc
	global_store_dwordx2 v[0:1], v[6:7], off
	s_endpgm
	.section	.rodata,"a",@progbits
	.p2align	6, 0x0
	.amdhsa_kernel _Z6kernelI20flag_heads_and_tailsxLj256ELj3ELb0ELj100EEvPKT0_PS1_
		.amdhsa_group_segment_fixed_size 4096
		.amdhsa_private_segment_fixed_size 0
		.amdhsa_kernarg_size 16
		.amdhsa_user_sgpr_count 2
		.amdhsa_user_sgpr_dispatch_ptr 0
		.amdhsa_user_sgpr_queue_ptr 0
		.amdhsa_user_sgpr_kernarg_segment_ptr 1
		.amdhsa_user_sgpr_dispatch_id 0
		.amdhsa_user_sgpr_kernarg_preload_length 0
		.amdhsa_user_sgpr_kernarg_preload_offset 0
		.amdhsa_user_sgpr_private_segment_size 0
		.amdhsa_uses_dynamic_stack 0
		.amdhsa_enable_private_segment 0
		.amdhsa_system_sgpr_workgroup_id_x 1
		.amdhsa_system_sgpr_workgroup_id_y 0
		.amdhsa_system_sgpr_workgroup_id_z 0
		.amdhsa_system_sgpr_workgroup_info 0
		.amdhsa_system_vgpr_workitem_id 0
		.amdhsa_next_free_vgpr 20
		.amdhsa_next_free_sgpr 12
		.amdhsa_accum_offset 20
		.amdhsa_reserve_vcc 1
		.amdhsa_float_round_mode_32 0
		.amdhsa_float_round_mode_16_64 0
		.amdhsa_float_denorm_mode_32 3
		.amdhsa_float_denorm_mode_16_64 3
		.amdhsa_dx10_clamp 1
		.amdhsa_ieee_mode 1
		.amdhsa_fp16_overflow 0
		.amdhsa_tg_split 0
		.amdhsa_exception_fp_ieee_invalid_op 0
		.amdhsa_exception_fp_denorm_src 0
		.amdhsa_exception_fp_ieee_div_zero 0
		.amdhsa_exception_fp_ieee_overflow 0
		.amdhsa_exception_fp_ieee_underflow 0
		.amdhsa_exception_fp_ieee_inexact 0
		.amdhsa_exception_int_div_zero 0
	.end_amdhsa_kernel
	.section	.text._Z6kernelI20flag_heads_and_tailsxLj256ELj3ELb0ELj100EEvPKT0_PS1_,"axG",@progbits,_Z6kernelI20flag_heads_and_tailsxLj256ELj3ELb0ELj100EEvPKT0_PS1_,comdat
.Lfunc_end112:
	.size	_Z6kernelI20flag_heads_and_tailsxLj256ELj3ELb0ELj100EEvPKT0_PS1_, .Lfunc_end112-_Z6kernelI20flag_heads_and_tailsxLj256ELj3ELb0ELj100EEvPKT0_PS1_
                                        ; -- End function
	.section	.AMDGPU.csdata,"",@progbits
; Kernel info:
; codeLenInByte = 588
; NumSgprs: 18
; NumVgprs: 20
; NumAgprs: 0
; TotalNumVgprs: 20
; ScratchSize: 0
; MemoryBound: 0
; FloatMode: 240
; IeeeMode: 1
; LDSByteSize: 4096 bytes/workgroup (compile time only)
; SGPRBlocks: 2
; VGPRBlocks: 2
; NumSGPRsForWavesPerEU: 18
; NumVGPRsForWavesPerEU: 20
; AccumOffset: 20
; Occupancy: 8
; WaveLimiterHint : 1
; COMPUTE_PGM_RSRC2:SCRATCH_EN: 0
; COMPUTE_PGM_RSRC2:USER_SGPR: 2
; COMPUTE_PGM_RSRC2:TRAP_HANDLER: 0
; COMPUTE_PGM_RSRC2:TGID_X_EN: 1
; COMPUTE_PGM_RSRC2:TGID_Y_EN: 0
; COMPUTE_PGM_RSRC2:TGID_Z_EN: 0
; COMPUTE_PGM_RSRC2:TIDIG_COMP_CNT: 0
; COMPUTE_PGM_RSRC3_GFX90A:ACCUM_OFFSET: 4
; COMPUTE_PGM_RSRC3_GFX90A:TG_SPLIT: 0
	.section	.text._Z6kernelI20flag_heads_and_tailsxLj256ELj4ELb0ELj100EEvPKT0_PS1_,"axG",@progbits,_Z6kernelI20flag_heads_and_tailsxLj256ELj4ELb0ELj100EEvPKT0_PS1_,comdat
	.protected	_Z6kernelI20flag_heads_and_tailsxLj256ELj4ELb0ELj100EEvPKT0_PS1_ ; -- Begin function _Z6kernelI20flag_heads_and_tailsxLj256ELj4ELb0ELj100EEvPKT0_PS1_
	.globl	_Z6kernelI20flag_heads_and_tailsxLj256ELj4ELb0ELj100EEvPKT0_PS1_
	.p2align	8
	.type	_Z6kernelI20flag_heads_and_tailsxLj256ELj4ELb0ELj100EEvPKT0_PS1_,@function
_Z6kernelI20flag_heads_and_tailsxLj256ELj4ELb0ELj100EEvPKT0_PS1_: ; @_Z6kernelI20flag_heads_and_tailsxLj256ELj4ELb0ELj100EEvPKT0_PS1_
; %bb.0:
	s_load_dwordx4 s[4:7], s[0:1], 0x0
	s_lshl_b32 s8, s2, 10
	s_mov_b32 s9, 0
	s_lshl_b64 s[10:11], s[8:9], 3
	v_mov_b32_e32 v7, 0
	s_waitcnt lgkmcnt(0)
	s_add_u32 s0, s4, s10
	s_addc_u32 s1, s5, s11
	v_lshlrev_b32_e32 v6, 3, v0
	v_lshl_add_u64 v[2:3], s[0:1], 0, v[6:7]
	s_movk_i32 s2, 0x1000
	v_add_co_u32_e32 v12, vcc, s2, v2
	global_load_dwordx2 v[4:5], v6, s[0:1] offset:2048
	s_nop 0
	v_addc_co_u32_e32 v13, vcc, 0, v3, vcc
	global_load_dwordx2 v[8:9], v[12:13], off
	global_load_dwordx2 v[10:11], v6, s[0:1]
	global_load_dwordx2 v[2:3], v[12:13], off offset:2048
	s_movk_i32 s0, 0xff
	v_cmp_ne_u32_e32 vcc, 0, v0
	v_cmp_ne_u32_e64 s[0:1], s0, v0
	v_add_u32_e32 v1, -8, v6
	v_or_b32_e32 v7, 0x800, v6
	s_movk_i32 s8, 0x64
	s_branch .LBB113_2
.LBB113_1:                              ;   in Loop: Header=BB113_2 Depth=1
	s_or_b64 exec, exec, s[4:5]
	v_cmp_eq_u64_e64 s[2:3], v[10:11], v[4:5]
	v_mov_b32_e32 v17, s9
	s_add_i32 s8, s8, -1
	v_cndmask_b32_e64 v16, 0, 1, s[2:3]
	v_lshl_add_u64 v[10:11], v[10:11], 0, v[16:17]
	v_cmp_eq_u64_e64 s[2:3], v[4:5], v[8:9]
	v_lshl_add_u64 v[10:11], v[10:11], 0, v[14:15]
	v_lshl_add_u64 v[14:15], v[4:5], 0, v[16:17]
	v_cndmask_b32_e64 v16, 0, 1, s[2:3]
	v_cmp_eq_u64_e64 s[2:3], v[8:9], v[2:3]
	v_lshl_add_u64 v[4:5], v[14:15], 0, v[16:17]
	v_lshl_add_u64 v[14:15], v[8:9], 0, v[16:17]
	v_cndmask_b32_e64 v16, 0, 1, s[2:3]
	v_lshl_add_u64 v[2:3], v[2:3], 0, v[16:17]
	v_lshl_add_u64 v[8:9], v[14:15], 0, v[16:17]
	;; [unrolled: 1-line block ×3, first 2 shown]
	s_cmp_lg_u32 s8, 0
	s_barrier
	s_cbranch_scc0 .LBB113_6
.LBB113_2:                              ; =>This Inner Loop Header: Depth=1
	v_mov_b64_e32 v[12:13], 1
	v_mov_b64_e32 v[14:15], v[12:13]
	s_waitcnt vmcnt(0)
	ds_write_b64 v6, v[2:3]
	s_waitcnt lgkmcnt(0)
	s_barrier
	s_and_saveexec_b64 s[4:5], vcc
	s_cbranch_execz .LBB113_4
; %bb.3:                                ;   in Loop: Header=BB113_2 Depth=1
	ds_read_b64 v[14:15], v1
	s_waitcnt lgkmcnt(0)
	v_cmp_eq_u64_e64 s[2:3], v[14:15], v[10:11]
	s_nop 1
	v_cndmask_b32_e64 v14, 0, 1, s[2:3]
	v_mov_b32_e32 v15, s9
.LBB113_4:                              ;   in Loop: Header=BB113_2 Depth=1
	s_or_b64 exec, exec, s[4:5]
	ds_write_b64 v6, v[10:11] offset:2048
	s_waitcnt lgkmcnt(0)
	s_barrier
	s_and_saveexec_b64 s[4:5], s[0:1]
	s_cbranch_execz .LBB113_1
; %bb.5:                                ;   in Loop: Header=BB113_2 Depth=1
	ds_read_b64 v[12:13], v7 offset:8
	s_waitcnt lgkmcnt(0)
	v_cmp_eq_u64_e64 s[2:3], v[2:3], v[12:13]
	s_nop 1
	v_cndmask_b32_e64 v12, 0, 1, s[2:3]
	v_mov_b32_e32 v13, s9
	s_branch .LBB113_1
.LBB113_6:
	s_add_u32 s0, s6, s10
	s_addc_u32 s1, s7, s11
	v_lshlrev_b32_e32 v0, 3, v0
	v_mov_b32_e32 v1, 0
	v_lshl_add_u64 v[6:7], s[0:1], 0, v[0:1]
	global_store_dwordx2 v0, v[10:11], s[0:1]
	global_store_dwordx2 v0, v[4:5], s[0:1] offset:2048
	v_add_co_u32_e32 v0, vcc, 0x1000, v6
	s_nop 1
	v_addc_co_u32_e32 v1, vcc, 0, v7, vcc
	global_store_dwordx2 v[0:1], v[8:9], off
	global_store_dwordx2 v[0:1], v[2:3], off offset:2048
	s_endpgm
	.section	.rodata,"a",@progbits
	.p2align	6, 0x0
	.amdhsa_kernel _Z6kernelI20flag_heads_and_tailsxLj256ELj4ELb0ELj100EEvPKT0_PS1_
		.amdhsa_group_segment_fixed_size 4096
		.amdhsa_private_segment_fixed_size 0
		.amdhsa_kernarg_size 16
		.amdhsa_user_sgpr_count 2
		.amdhsa_user_sgpr_dispatch_ptr 0
		.amdhsa_user_sgpr_queue_ptr 0
		.amdhsa_user_sgpr_kernarg_segment_ptr 1
		.amdhsa_user_sgpr_dispatch_id 0
		.amdhsa_user_sgpr_kernarg_preload_length 0
		.amdhsa_user_sgpr_kernarg_preload_offset 0
		.amdhsa_user_sgpr_private_segment_size 0
		.amdhsa_uses_dynamic_stack 0
		.amdhsa_enable_private_segment 0
		.amdhsa_system_sgpr_workgroup_id_x 1
		.amdhsa_system_sgpr_workgroup_id_y 0
		.amdhsa_system_sgpr_workgroup_id_z 0
		.amdhsa_system_sgpr_workgroup_info 0
		.amdhsa_system_vgpr_workitem_id 0
		.amdhsa_next_free_vgpr 18
		.amdhsa_next_free_sgpr 12
		.amdhsa_accum_offset 20
		.amdhsa_reserve_vcc 1
		.amdhsa_float_round_mode_32 0
		.amdhsa_float_round_mode_16_64 0
		.amdhsa_float_denorm_mode_32 3
		.amdhsa_float_denorm_mode_16_64 3
		.amdhsa_dx10_clamp 1
		.amdhsa_ieee_mode 1
		.amdhsa_fp16_overflow 0
		.amdhsa_tg_split 0
		.amdhsa_exception_fp_ieee_invalid_op 0
		.amdhsa_exception_fp_denorm_src 0
		.amdhsa_exception_fp_ieee_div_zero 0
		.amdhsa_exception_fp_ieee_overflow 0
		.amdhsa_exception_fp_ieee_underflow 0
		.amdhsa_exception_fp_ieee_inexact 0
		.amdhsa_exception_int_div_zero 0
	.end_amdhsa_kernel
	.section	.text._Z6kernelI20flag_heads_and_tailsxLj256ELj4ELb0ELj100EEvPKT0_PS1_,"axG",@progbits,_Z6kernelI20flag_heads_and_tailsxLj256ELj4ELb0ELj100EEvPKT0_PS1_,comdat
.Lfunc_end113:
	.size	_Z6kernelI20flag_heads_and_tailsxLj256ELj4ELb0ELj100EEvPKT0_PS1_, .Lfunc_end113-_Z6kernelI20flag_heads_and_tailsxLj256ELj4ELb0ELj100EEvPKT0_PS1_
                                        ; -- End function
	.section	.AMDGPU.csdata,"",@progbits
; Kernel info:
; codeLenInByte = 484
; NumSgprs: 18
; NumVgprs: 18
; NumAgprs: 0
; TotalNumVgprs: 18
; ScratchSize: 0
; MemoryBound: 0
; FloatMode: 240
; IeeeMode: 1
; LDSByteSize: 4096 bytes/workgroup (compile time only)
; SGPRBlocks: 2
; VGPRBlocks: 2
; NumSGPRsForWavesPerEU: 18
; NumVGPRsForWavesPerEU: 18
; AccumOffset: 20
; Occupancy: 8
; WaveLimiterHint : 1
; COMPUTE_PGM_RSRC2:SCRATCH_EN: 0
; COMPUTE_PGM_RSRC2:USER_SGPR: 2
; COMPUTE_PGM_RSRC2:TRAP_HANDLER: 0
; COMPUTE_PGM_RSRC2:TGID_X_EN: 1
; COMPUTE_PGM_RSRC2:TGID_Y_EN: 0
; COMPUTE_PGM_RSRC2:TGID_Z_EN: 0
; COMPUTE_PGM_RSRC2:TIDIG_COMP_CNT: 0
; COMPUTE_PGM_RSRC3_GFX90A:ACCUM_OFFSET: 4
; COMPUTE_PGM_RSRC3_GFX90A:TG_SPLIT: 0
	.section	.text._Z6kernelI20flag_heads_and_tailsxLj256ELj8ELb0ELj100EEvPKT0_PS1_,"axG",@progbits,_Z6kernelI20flag_heads_and_tailsxLj256ELj8ELb0ELj100EEvPKT0_PS1_,comdat
	.protected	_Z6kernelI20flag_heads_and_tailsxLj256ELj8ELb0ELj100EEvPKT0_PS1_ ; -- Begin function _Z6kernelI20flag_heads_and_tailsxLj256ELj8ELb0ELj100EEvPKT0_PS1_
	.globl	_Z6kernelI20flag_heads_and_tailsxLj256ELj8ELb0ELj100EEvPKT0_PS1_
	.p2align	8
	.type	_Z6kernelI20flag_heads_and_tailsxLj256ELj8ELb0ELj100EEvPKT0_PS1_,@function
_Z6kernelI20flag_heads_and_tailsxLj256ELj8ELb0ELj100EEvPKT0_PS1_: ; @_Z6kernelI20flag_heads_and_tailsxLj256ELj8ELb0ELj100EEvPKT0_PS1_
; %bb.0:
	s_load_dwordx4 s[4:7], s[0:1], 0x0
	s_lshl_b32 s0, s2, 11
	s_mov_b32 s1, 0
	s_lshl_b64 s[8:9], s[0:1], 3
	v_mov_b32_e32 v7, 0
	s_waitcnt lgkmcnt(0)
	s_add_u32 s0, s4, s8
	s_addc_u32 s1, s5, s9
	v_lshlrev_b32_e32 v12, 3, v0
	v_mov_b32_e32 v13, v7
	v_lshl_add_u64 v[8:9], s[0:1], 0, v[12:13]
	s_movk_i32 s2, 0x1000
	v_add_co_u32_e32 v22, vcc, s2, v8
	s_movk_i32 s2, 0x2000
	s_nop 0
	v_addc_co_u32_e32 v23, vcc, 0, v9, vcc
	v_add_co_u32_e32 v10, vcc, s2, v8
	s_movk_i32 s2, 0x3000
	s_nop 0
	v_addc_co_u32_e32 v11, vcc, 0, v9, vcc
	v_add_co_u32_e32 v24, vcc, s2, v8
	global_load_dwordx2 v[16:17], v12, s[0:1] offset:2048
	global_load_dwordx2 v[14:15], v[10:11], off offset:-4096
	global_load_dwordx2 v[4:5], v[10:11], off
	global_load_dwordx2 v[2:3], v[10:11], off offset:2048
	v_addc_co_u32_e32 v25, vcc, 0, v9, vcc
	global_load_dwordx2 v[18:19], v[22:23], off offset:2048
	global_load_dwordx2 v[8:9], v[24:25], off
	global_load_dwordx2 v[20:21], v12, s[0:1]
	global_load_dwordx2 v[10:11], v[24:25], off offset:2048
	s_movk_i32 s10, 0xff
	v_cmp_ne_u32_e32 vcc, 0, v0
	v_cmp_ne_u32_e64 s[0:1], s10, v0
	v_add_u32_e32 v1, -8, v12
	v_or_b32_e32 v13, 0x800, v12
	s_movk_i32 s11, 0x64
	s_movk_i32 s12, 0x100
	s_mov_b32 s13, 0x3020104
	v_mov_b32_e32 v22, 8
	s_branch .LBB114_2
.LBB114_1:                              ;   in Loop: Header=BB114_2 Depth=1
	s_or_b64 exec, exec, s[4:5]
	v_and_b32_e32 v6, 0xff, v24
	v_lshl_add_u64 v[20:21], v[20:21], 0, v[6:7]
	v_bfe_u32 v6, v24, 8, 8
	v_lshl_add_u64 v[16:17], v[16:17], 0, v[6:7]
	v_bfe_u32 v6, v24, 16, 8
	v_and_b32_e32 v28, 0xff, v27
	v_mov_b32_e32 v29, v7
	v_lshl_add_u64 v[14:15], v[14:15], 0, v[6:7]
	v_lshrrev_b32_e32 v6, 24, v24
	v_lshl_add_u64 v[20:21], v[20:21], 0, v[28:29]
	v_bfe_u32 v28, v27, 8, 8
	v_lshl_add_u64 v[18:19], v[18:19], 0, v[6:7]
	v_and_b32_e32 v6, 0xff, v23
	v_lshl_add_u64 v[16:17], v[16:17], 0, v[28:29]
	v_bfe_u32 v28, v27, 16, 8
	v_lshrrev_b32_e32 v26, 24, v27
	v_mov_b32_e32 v27, v7
	v_lshl_add_u64 v[4:5], v[4:5], 0, v[6:7]
	v_bfe_u32 v6, v23, 8, 8
	v_lshl_add_u64 v[18:19], v[18:19], 0, v[26:27]
	v_and_b32_e32 v26, 0xff, v25
	v_lshl_add_u64 v[2:3], v[2:3], 0, v[6:7]
	v_bfe_u32 v6, v23, 16, 8
	v_lshl_add_u64 v[4:5], v[4:5], 0, v[26:27]
	v_bfe_u32 v26, v25, 8, 8
	v_lshl_add_u64 v[8:9], v[8:9], 0, v[6:7]
	v_lshrrev_b32_e32 v6, 24, v23
	v_lshl_add_u64 v[2:3], v[2:3], 0, v[26:27]
	v_bfe_u32 v26, v25, 16, 8
	v_lshrrev_b32_e32 v24, 24, v25
	v_mov_b32_e32 v25, v7
	v_lshl_add_u64 v[10:11], v[10:11], 0, v[6:7]
	s_add_i32 s11, s11, -1
	v_lshl_add_u64 v[14:15], v[14:15], 0, v[28:29]
	v_lshl_add_u64 v[8:9], v[8:9], 0, v[26:27]
	;; [unrolled: 1-line block ×3, first 2 shown]
	s_cmp_lg_u32 s11, 0
	s_barrier
	s_cbranch_scc0 .LBB114_6
.LBB114_2:                              ; =>This Inner Loop Header: Depth=1
	s_waitcnt vmcnt(0)
	v_cmp_eq_u64_e64 s[2:3], v[8:9], v[10:11]
	ds_write_b64 v12, v[10:11]
	s_waitcnt lgkmcnt(0)
	v_cndmask_b32_e64 v6, 0, 1, s[2:3]
	v_cmp_eq_u64_e64 s[2:3], v[2:3], v[8:9]
	v_lshlrev_b16_e32 v31, 8, v6
	s_barrier
	v_cndmask_b32_e64 v25, 0, 1, s[2:3]
	v_cmp_eq_u64_e64 s[2:3], v[4:5], v[2:3]
	v_or_b32_sdwa v31, v25, v31 dst_sel:WORD_1 dst_unused:UNUSED_PAD src0_sel:DWORD src1_sel:DWORD
	s_nop 0
	v_cndmask_b32_e64 v26, 0, 1, s[2:3]
	v_cmp_eq_u64_e64 s[2:3], v[18:19], v[4:5]
	s_nop 1
	v_cndmask_b32_e64 v27, 0, 1, s[2:3]
	v_cmp_eq_u64_e64 s[2:3], v[14:15], v[18:19]
	;; [unrolled: 3-line block ×3, first 2 shown]
	v_lshlrev_b16_e32 v23, 8, v28
	s_nop 0
	v_cndmask_b32_e64 v29, 0, 1, s[2:3]
	v_cmp_eq_u64_e64 s[2:3], v[20:21], v[16:17]
	v_or_b32_sdwa v23, v29, v23 dst_sel:WORD_1 dst_unused:UNUSED_PAD src0_sel:DWORD src1_sel:DWORD
	s_nop 0
	v_cndmask_b32_e64 v30, 0, 1, s[2:3]
	v_lshlrev_b16_e32 v24, 8, v30
	v_or_b32_e32 v24, 1, v24
	v_or_b32_sdwa v24, v24, v23 dst_sel:DWORD dst_unused:UNUSED_PAD src0_sel:WORD_0 src1_sel:DWORD
	v_lshlrev_b16_e32 v23, 8, v26
	v_or_b32_e32 v23, v27, v23
	v_or_b32_sdwa v23, v23, v31 dst_sel:DWORD dst_unused:UNUSED_PAD src0_sel:WORD_0 src1_sel:DWORD
	s_and_saveexec_b64 s[4:5], vcc
	s_cbranch_execz .LBB114_4
; %bb.3:                                ;   in Loop: Header=BB114_2 Depth=1
	ds_read_b64 v[32:33], v1
	v_lshrrev_b32_e32 v34, 24, v24
	v_lshrrev_b32_sdwa v31, v22, v24 dst_sel:BYTE_1 dst_unused:UNUSED_PAD src0_sel:DWORD src1_sel:DWORD
	v_lshlrev_b16_e32 v34, 8, v34
	v_and_b32_sdwa v24, v24, s10 dst_sel:DWORD dst_unused:UNUSED_PAD src0_sel:WORD_1 src1_sel:DWORD
	s_waitcnt lgkmcnt(0)
	v_cmp_eq_u64_e64 s[2:3], v[32:33], v[20:21]
	v_or_b32_sdwa v24, v24, v34 dst_sel:WORD_1 dst_unused:UNUSED_PAD src0_sel:DWORD src1_sel:DWORD
	s_nop 0
	v_cndmask_b32_e64 v32, 0, 1, s[2:3]
	v_or_b32_e32 v31, v32, v31
	v_or_b32_sdwa v24, v31, v24 dst_sel:DWORD dst_unused:UNUSED_PAD src0_sel:WORD_0 src1_sel:DWORD
.LBB114_4:                              ;   in Loop: Header=BB114_2 Depth=1
	s_or_b64 exec, exec, s[4:5]
	v_lshlrev_b16_e32 v29, 8, v29
	v_lshlrev_b16_e32 v27, 8, v27
	;; [unrolled: 1-line block ×3, first 2 shown]
	v_or_b32_e32 v29, v30, v29
	v_or_b32_sdwa v27, v28, v27 dst_sel:WORD_1 dst_unused:UNUSED_PAD src0_sel:DWORD src1_sel:DWORD
	v_or_b32_e32 v25, v26, v25
	v_or_b32_sdwa v6, v6, s12 dst_sel:WORD_1 dst_unused:UNUSED_PAD src0_sel:DWORD src1_sel:DWORD
	v_or_b32_sdwa v27, v29, v27 dst_sel:DWORD dst_unused:UNUSED_PAD src0_sel:WORD_0 src1_sel:DWORD
	v_or_b32_sdwa v25, v25, v6 dst_sel:DWORD dst_unused:UNUSED_PAD src0_sel:WORD_0 src1_sel:DWORD
	ds_write_b64 v12, v[20:21] offset:2048
	s_waitcnt lgkmcnt(0)
	s_barrier
	s_and_saveexec_b64 s[4:5], s[0:1]
	s_cbranch_execz .LBB114_1
; %bb.5:                                ;   in Loop: Header=BB114_2 Depth=1
	ds_read_b64 v[28:29], v13 offset:8
	v_lshrrev_b32_sdwa v6, v22, v25 dst_sel:BYTE_1 dst_unused:UNUSED_PAD src0_sel:DWORD src1_sel:DWORD
	v_perm_b32 v27, v27, v27, s13
	v_or_b32_sdwa v6, v25, v6 dst_sel:DWORD dst_unused:UNUSED_PAD src0_sel:BYTE_0 src1_sel:DWORD
	v_and_b32_sdwa v25, v25, s10 dst_sel:DWORD dst_unused:UNUSED_PAD src0_sel:WORD_1 src1_sel:DWORD
	s_waitcnt lgkmcnt(0)
	v_cmp_eq_u64_e64 s[2:3], v[10:11], v[28:29]
	s_nop 1
	v_cndmask_b32_e64 v26, 0, 1, s[2:3]
	v_lshlrev_b16_e32 v26, 8, v26
	v_or_b32_sdwa v25, v25, v26 dst_sel:WORD_1 dst_unused:UNUSED_PAD src0_sel:DWORD src1_sel:DWORD
	s_nop 0
	v_or_b32_sdwa v25, v6, v25 dst_sel:DWORD dst_unused:UNUSED_PAD src0_sel:WORD_0 src1_sel:DWORD
	s_branch .LBB114_1
.LBB114_6:
	s_add_u32 s0, s6, s8
	s_addc_u32 s1, s7, s9
	v_lshlrev_b32_e32 v0, 3, v0
	v_mov_b32_e32 v1, 0
	v_lshl_add_u64 v[6:7], s[0:1], 0, v[0:1]
	global_store_dwordx2 v0, v[20:21], s[0:1]
	global_store_dwordx2 v0, v[16:17], s[0:1] offset:2048
	v_add_co_u32_e32 v0, vcc, 0x1000, v6
	s_nop 1
	v_addc_co_u32_e32 v1, vcc, 0, v7, vcc
	global_store_dwordx2 v[0:1], v[14:15], off
	global_store_dwordx2 v[0:1], v[18:19], off offset:2048
	v_add_co_u32_e32 v0, vcc, 0x2000, v6
	s_nop 1
	v_addc_co_u32_e32 v1, vcc, 0, v7, vcc
	global_store_dwordx2 v[0:1], v[4:5], off
	global_store_dwordx2 v[0:1], v[2:3], off offset:2048
	;; [unrolled: 5-line block ×3, first 2 shown]
	s_endpgm
	.section	.rodata,"a",@progbits
	.p2align	6, 0x0
	.amdhsa_kernel _Z6kernelI20flag_heads_and_tailsxLj256ELj8ELb0ELj100EEvPKT0_PS1_
		.amdhsa_group_segment_fixed_size 4096
		.amdhsa_private_segment_fixed_size 0
		.amdhsa_kernarg_size 16
		.amdhsa_user_sgpr_count 2
		.amdhsa_user_sgpr_dispatch_ptr 0
		.amdhsa_user_sgpr_queue_ptr 0
		.amdhsa_user_sgpr_kernarg_segment_ptr 1
		.amdhsa_user_sgpr_dispatch_id 0
		.amdhsa_user_sgpr_kernarg_preload_length 0
		.amdhsa_user_sgpr_kernarg_preload_offset 0
		.amdhsa_user_sgpr_private_segment_size 0
		.amdhsa_uses_dynamic_stack 0
		.amdhsa_enable_private_segment 0
		.amdhsa_system_sgpr_workgroup_id_x 1
		.amdhsa_system_sgpr_workgroup_id_y 0
		.amdhsa_system_sgpr_workgroup_id_z 0
		.amdhsa_system_sgpr_workgroup_info 0
		.amdhsa_system_vgpr_workitem_id 0
		.amdhsa_next_free_vgpr 35
		.amdhsa_next_free_sgpr 14
		.amdhsa_accum_offset 36
		.amdhsa_reserve_vcc 1
		.amdhsa_float_round_mode_32 0
		.amdhsa_float_round_mode_16_64 0
		.amdhsa_float_denorm_mode_32 3
		.amdhsa_float_denorm_mode_16_64 3
		.amdhsa_dx10_clamp 1
		.amdhsa_ieee_mode 1
		.amdhsa_fp16_overflow 0
		.amdhsa_tg_split 0
		.amdhsa_exception_fp_ieee_invalid_op 0
		.amdhsa_exception_fp_denorm_src 0
		.amdhsa_exception_fp_ieee_div_zero 0
		.amdhsa_exception_fp_ieee_overflow 0
		.amdhsa_exception_fp_ieee_underflow 0
		.amdhsa_exception_fp_ieee_inexact 0
		.amdhsa_exception_int_div_zero 0
	.end_amdhsa_kernel
	.section	.text._Z6kernelI20flag_heads_and_tailsxLj256ELj8ELb0ELj100EEvPKT0_PS1_,"axG",@progbits,_Z6kernelI20flag_heads_and_tailsxLj256ELj8ELb0ELj100EEvPKT0_PS1_,comdat
.Lfunc_end114:
	.size	_Z6kernelI20flag_heads_and_tailsxLj256ELj8ELb0ELj100EEvPKT0_PS1_, .Lfunc_end114-_Z6kernelI20flag_heads_and_tailsxLj256ELj8ELb0ELj100EEvPKT0_PS1_
                                        ; -- End function
	.section	.AMDGPU.csdata,"",@progbits
; Kernel info:
; codeLenInByte = 1088
; NumSgprs: 20
; NumVgprs: 35
; NumAgprs: 0
; TotalNumVgprs: 35
; ScratchSize: 0
; MemoryBound: 0
; FloatMode: 240
; IeeeMode: 1
; LDSByteSize: 4096 bytes/workgroup (compile time only)
; SGPRBlocks: 2
; VGPRBlocks: 4
; NumSGPRsForWavesPerEU: 20
; NumVGPRsForWavesPerEU: 35
; AccumOffset: 36
; Occupancy: 8
; WaveLimiterHint : 1
; COMPUTE_PGM_RSRC2:SCRATCH_EN: 0
; COMPUTE_PGM_RSRC2:USER_SGPR: 2
; COMPUTE_PGM_RSRC2:TRAP_HANDLER: 0
; COMPUTE_PGM_RSRC2:TGID_X_EN: 1
; COMPUTE_PGM_RSRC2:TGID_Y_EN: 0
; COMPUTE_PGM_RSRC2:TGID_Z_EN: 0
; COMPUTE_PGM_RSRC2:TIDIG_COMP_CNT: 0
; COMPUTE_PGM_RSRC3_GFX90A:ACCUM_OFFSET: 8
; COMPUTE_PGM_RSRC3_GFX90A:TG_SPLIT: 0
	.section	.text._Z6kernelI20flag_heads_and_tailsxLj256ELj1ELb1ELj100EEvPKT0_PS1_,"axG",@progbits,_Z6kernelI20flag_heads_and_tailsxLj256ELj1ELb1ELj100EEvPKT0_PS1_,comdat
	.protected	_Z6kernelI20flag_heads_and_tailsxLj256ELj1ELb1ELj100EEvPKT0_PS1_ ; -- Begin function _Z6kernelI20flag_heads_and_tailsxLj256ELj1ELb1ELj100EEvPKT0_PS1_
	.globl	_Z6kernelI20flag_heads_and_tailsxLj256ELj1ELb1ELj100EEvPKT0_PS1_
	.p2align	8
	.type	_Z6kernelI20flag_heads_and_tailsxLj256ELj1ELb1ELj100EEvPKT0_PS1_,@function
_Z6kernelI20flag_heads_and_tailsxLj256ELj1ELb1ELj100EEvPKT0_PS1_: ; @_Z6kernelI20flag_heads_and_tailsxLj256ELj1ELb1ELj100EEvPKT0_PS1_
; %bb.0:
	s_load_dwordx4 s[4:7], s[0:1], 0x0
	s_lshl_b32 s8, s2, 8
	s_mov_b32 s9, 0
	s_lshl_b64 s[10:11], s[8:9], 3
	v_lshlrev_b32_e32 v1, 3, v0
	s_waitcnt lgkmcnt(0)
	s_add_u32 s0, s4, s10
	s_addc_u32 s1, s5, s11
	global_load_dwordx2 v[2:3], v1, s[0:1]
	s_movk_i32 s0, 0xff
	v_cmp_ne_u32_e32 vcc, 0, v0
	v_cmp_ne_u32_e64 s[0:1], s0, v0
	v_add_u32_e32 v8, -8, v1
	v_or_b32_e32 v9, 0x800, v1
	s_movk_i32 s4, 0x64
	s_branch .LBB115_2
.LBB115_1:                              ;   in Loop: Header=BB115_2 Depth=1
	s_or_b64 exec, exec, s[2:3]
	v_cmp_eq_u64_e64 s[2:3], v[4:5], v[2:3]
	v_mov_b32_e32 v5, s9
	s_add_i32 s4, s4, -1
	v_cndmask_b32_e64 v4, 0, 1, s[2:3]
	s_waitcnt lgkmcnt(0)
	v_cmp_eq_u64_e64 s[2:3], v[6:7], v[2:3]
	v_lshl_add_u64 v[4:5], v[2:3], 0, v[4:5]
	v_mov_b32_e32 v3, s9
	v_cndmask_b32_e64 v2, 0, 1, s[2:3]
	v_lshl_add_u64 v[2:3], v[4:5], 0, v[2:3]
	s_cmp_lg_u32 s4, 0
	s_barrier
	s_cbranch_scc0 .LBB115_6
.LBB115_2:                              ; =>This Inner Loop Header: Depth=1
	v_mov_b64_e32 v[4:5], 0x7b
	s_waitcnt vmcnt(0)
	ds_write_b64 v1, v[2:3]
	s_waitcnt lgkmcnt(0)
	s_barrier
	s_and_saveexec_b64 s[2:3], vcc
	s_cbranch_execz .LBB115_4
; %bb.3:                                ;   in Loop: Header=BB115_2 Depth=1
	ds_read_b64 v[4:5], v8
.LBB115_4:                              ;   in Loop: Header=BB115_2 Depth=1
	s_or_b64 exec, exec, s[2:3]
	v_mov_b64_e32 v[6:7], 0xea
	ds_write_b64 v1, v[2:3] offset:2048
	s_waitcnt lgkmcnt(0)
	s_barrier
	s_and_saveexec_b64 s[2:3], s[0:1]
	s_cbranch_execz .LBB115_1
; %bb.5:                                ;   in Loop: Header=BB115_2 Depth=1
	ds_read_b64 v[6:7], v9 offset:8
	s_branch .LBB115_1
.LBB115_6:
	s_add_u32 s0, s6, s10
	s_addc_u32 s1, s7, s11
	v_lshlrev_b32_e32 v0, 3, v0
	global_store_dwordx2 v0, v[2:3], s[0:1]
	s_endpgm
	.section	.rodata,"a",@progbits
	.p2align	6, 0x0
	.amdhsa_kernel _Z6kernelI20flag_heads_and_tailsxLj256ELj1ELb1ELj100EEvPKT0_PS1_
		.amdhsa_group_segment_fixed_size 4096
		.amdhsa_private_segment_fixed_size 0
		.amdhsa_kernarg_size 16
		.amdhsa_user_sgpr_count 2
		.amdhsa_user_sgpr_dispatch_ptr 0
		.amdhsa_user_sgpr_queue_ptr 0
		.amdhsa_user_sgpr_kernarg_segment_ptr 1
		.amdhsa_user_sgpr_dispatch_id 0
		.amdhsa_user_sgpr_kernarg_preload_length 0
		.amdhsa_user_sgpr_kernarg_preload_offset 0
		.amdhsa_user_sgpr_private_segment_size 0
		.amdhsa_uses_dynamic_stack 0
		.amdhsa_enable_private_segment 0
		.amdhsa_system_sgpr_workgroup_id_x 1
		.amdhsa_system_sgpr_workgroup_id_y 0
		.amdhsa_system_sgpr_workgroup_id_z 0
		.amdhsa_system_sgpr_workgroup_info 0
		.amdhsa_system_vgpr_workitem_id 0
		.amdhsa_next_free_vgpr 10
		.amdhsa_next_free_sgpr 12
		.amdhsa_accum_offset 12
		.amdhsa_reserve_vcc 1
		.amdhsa_float_round_mode_32 0
		.amdhsa_float_round_mode_16_64 0
		.amdhsa_float_denorm_mode_32 3
		.amdhsa_float_denorm_mode_16_64 3
		.amdhsa_dx10_clamp 1
		.amdhsa_ieee_mode 1
		.amdhsa_fp16_overflow 0
		.amdhsa_tg_split 0
		.amdhsa_exception_fp_ieee_invalid_op 0
		.amdhsa_exception_fp_denorm_src 0
		.amdhsa_exception_fp_ieee_div_zero 0
		.amdhsa_exception_fp_ieee_overflow 0
		.amdhsa_exception_fp_ieee_underflow 0
		.amdhsa_exception_fp_ieee_inexact 0
		.amdhsa_exception_int_div_zero 0
	.end_amdhsa_kernel
	.section	.text._Z6kernelI20flag_heads_and_tailsxLj256ELj1ELb1ELj100EEvPKT0_PS1_,"axG",@progbits,_Z6kernelI20flag_heads_and_tailsxLj256ELj1ELb1ELj100EEvPKT0_PS1_,comdat
.Lfunc_end115:
	.size	_Z6kernelI20flag_heads_and_tailsxLj256ELj1ELb1ELj100EEvPKT0_PS1_, .Lfunc_end115-_Z6kernelI20flag_heads_and_tailsxLj256ELj1ELb1ELj100EEvPKT0_PS1_
                                        ; -- End function
	.section	.AMDGPU.csdata,"",@progbits
; Kernel info:
; codeLenInByte = 276
; NumSgprs: 18
; NumVgprs: 10
; NumAgprs: 0
; TotalNumVgprs: 10
; ScratchSize: 0
; MemoryBound: 0
; FloatMode: 240
; IeeeMode: 1
; LDSByteSize: 4096 bytes/workgroup (compile time only)
; SGPRBlocks: 2
; VGPRBlocks: 1
; NumSGPRsForWavesPerEU: 18
; NumVGPRsForWavesPerEU: 10
; AccumOffset: 12
; Occupancy: 8
; WaveLimiterHint : 0
; COMPUTE_PGM_RSRC2:SCRATCH_EN: 0
; COMPUTE_PGM_RSRC2:USER_SGPR: 2
; COMPUTE_PGM_RSRC2:TRAP_HANDLER: 0
; COMPUTE_PGM_RSRC2:TGID_X_EN: 1
; COMPUTE_PGM_RSRC2:TGID_Y_EN: 0
; COMPUTE_PGM_RSRC2:TGID_Z_EN: 0
; COMPUTE_PGM_RSRC2:TIDIG_COMP_CNT: 0
; COMPUTE_PGM_RSRC3_GFX90A:ACCUM_OFFSET: 2
; COMPUTE_PGM_RSRC3_GFX90A:TG_SPLIT: 0
	.section	.text._Z6kernelI20flag_heads_and_tailsxLj256ELj2ELb1ELj100EEvPKT0_PS1_,"axG",@progbits,_Z6kernelI20flag_heads_and_tailsxLj256ELj2ELb1ELj100EEvPKT0_PS1_,comdat
	.protected	_Z6kernelI20flag_heads_and_tailsxLj256ELj2ELb1ELj100EEvPKT0_PS1_ ; -- Begin function _Z6kernelI20flag_heads_and_tailsxLj256ELj2ELb1ELj100EEvPKT0_PS1_
	.globl	_Z6kernelI20flag_heads_and_tailsxLj256ELj2ELb1ELj100EEvPKT0_PS1_
	.p2align	8
	.type	_Z6kernelI20flag_heads_and_tailsxLj256ELj2ELb1ELj100EEvPKT0_PS1_,@function
_Z6kernelI20flag_heads_and_tailsxLj256ELj2ELb1ELj100EEvPKT0_PS1_: ; @_Z6kernelI20flag_heads_and_tailsxLj256ELj2ELb1ELj100EEvPKT0_PS1_
; %bb.0:
	s_load_dwordx4 s[4:7], s[0:1], 0x0
	s_lshl_b32 s8, s2, 9
	s_mov_b32 s9, 0
	s_lshl_b64 s[10:11], s[8:9], 3
	v_lshlrev_b32_e32 v1, 3, v0
	s_waitcnt lgkmcnt(0)
	s_add_u32 s0, s4, s10
	s_addc_u32 s1, s5, s11
	global_load_dwordx2 v[2:3], v1, s[0:1]
	global_load_dwordx2 v[4:5], v1, s[0:1] offset:2048
	s_movk_i32 s0, 0xff
	v_cmp_ne_u32_e32 vcc, 0, v0
	v_cmp_ne_u32_e64 s[0:1], s0, v0
	v_add_u32_e32 v10, -8, v1
	v_or_b32_e32 v11, 0x800, v1
	s_movk_i32 s4, 0x64
	s_branch .LBB116_2
.LBB116_1:                              ;   in Loop: Header=BB116_2 Depth=1
	s_or_b64 exec, exec, s[2:3]
	v_cmp_eq_u64_e64 s[2:3], v[6:7], v[2:3]
	v_mov_b32_e32 v13, s9
	v_mov_b32_e32 v7, s9
	v_cndmask_b32_e64 v6, 0, 1, s[2:3]
	v_cmp_eq_u64_e64 s[2:3], v[2:3], v[4:5]
	s_add_i32 s4, s4, -1
	s_cmp_lg_u32 s4, 0
	v_cndmask_b32_e64 v12, 0, 1, s[2:3]
	v_lshl_add_u64 v[2:3], v[2:3], 0, v[12:13]
	s_waitcnt lgkmcnt(0)
	v_cmp_eq_u64_e64 s[2:3], v[8:9], v[4:5]
	v_lshl_add_u64 v[2:3], v[2:3], 0, v[6:7]
	v_lshl_add_u64 v[6:7], v[4:5], 0, v[12:13]
	v_cndmask_b32_e64 v4, 0, 1, s[2:3]
	v_mov_b32_e32 v5, s9
	v_lshl_add_u64 v[4:5], v[6:7], 0, v[4:5]
	s_barrier
	s_cbranch_scc0 .LBB116_6
.LBB116_2:                              ; =>This Inner Loop Header: Depth=1
	v_mov_b64_e32 v[6:7], 0x7b
	s_waitcnt vmcnt(0)
	ds_write_b64 v1, v[4:5]
	s_waitcnt lgkmcnt(0)
	s_barrier
	s_and_saveexec_b64 s[2:3], vcc
	s_cbranch_execz .LBB116_4
; %bb.3:                                ;   in Loop: Header=BB116_2 Depth=1
	ds_read_b64 v[6:7], v10
.LBB116_4:                              ;   in Loop: Header=BB116_2 Depth=1
	s_or_b64 exec, exec, s[2:3]
	v_mov_b64_e32 v[8:9], 0xea
	ds_write_b64 v1, v[2:3] offset:2048
	s_waitcnt lgkmcnt(0)
	s_barrier
	s_and_saveexec_b64 s[2:3], s[0:1]
	s_cbranch_execz .LBB116_1
; %bb.5:                                ;   in Loop: Header=BB116_2 Depth=1
	ds_read_b64 v[8:9], v11 offset:8
	s_branch .LBB116_1
.LBB116_6:
	s_add_u32 s0, s6, s10
	s_addc_u32 s1, s7, s11
	v_lshlrev_b32_e32 v0, 3, v0
	global_store_dwordx2 v0, v[2:3], s[0:1]
	global_store_dwordx2 v0, v[4:5], s[0:1] offset:2048
	s_endpgm
	.section	.rodata,"a",@progbits
	.p2align	6, 0x0
	.amdhsa_kernel _Z6kernelI20flag_heads_and_tailsxLj256ELj2ELb1ELj100EEvPKT0_PS1_
		.amdhsa_group_segment_fixed_size 4096
		.amdhsa_private_segment_fixed_size 0
		.amdhsa_kernarg_size 16
		.amdhsa_user_sgpr_count 2
		.amdhsa_user_sgpr_dispatch_ptr 0
		.amdhsa_user_sgpr_queue_ptr 0
		.amdhsa_user_sgpr_kernarg_segment_ptr 1
		.amdhsa_user_sgpr_dispatch_id 0
		.amdhsa_user_sgpr_kernarg_preload_length 0
		.amdhsa_user_sgpr_kernarg_preload_offset 0
		.amdhsa_user_sgpr_private_segment_size 0
		.amdhsa_uses_dynamic_stack 0
		.amdhsa_enable_private_segment 0
		.amdhsa_system_sgpr_workgroup_id_x 1
		.amdhsa_system_sgpr_workgroup_id_y 0
		.amdhsa_system_sgpr_workgroup_id_z 0
		.amdhsa_system_sgpr_workgroup_info 0
		.amdhsa_system_vgpr_workitem_id 0
		.amdhsa_next_free_vgpr 14
		.amdhsa_next_free_sgpr 12
		.amdhsa_accum_offset 16
		.amdhsa_reserve_vcc 1
		.amdhsa_float_round_mode_32 0
		.amdhsa_float_round_mode_16_64 0
		.amdhsa_float_denorm_mode_32 3
		.amdhsa_float_denorm_mode_16_64 3
		.amdhsa_dx10_clamp 1
		.amdhsa_ieee_mode 1
		.amdhsa_fp16_overflow 0
		.amdhsa_tg_split 0
		.amdhsa_exception_fp_ieee_invalid_op 0
		.amdhsa_exception_fp_denorm_src 0
		.amdhsa_exception_fp_ieee_div_zero 0
		.amdhsa_exception_fp_ieee_overflow 0
		.amdhsa_exception_fp_ieee_underflow 0
		.amdhsa_exception_fp_ieee_inexact 0
		.amdhsa_exception_int_div_zero 0
	.end_amdhsa_kernel
	.section	.text._Z6kernelI20flag_heads_and_tailsxLj256ELj2ELb1ELj100EEvPKT0_PS1_,"axG",@progbits,_Z6kernelI20flag_heads_and_tailsxLj256ELj2ELb1ELj100EEvPKT0_PS1_,comdat
.Lfunc_end116:
	.size	_Z6kernelI20flag_heads_and_tailsxLj256ELj2ELb1ELj100EEvPKT0_PS1_, .Lfunc_end116-_Z6kernelI20flag_heads_and_tailsxLj256ELj2ELb1ELj100EEvPKT0_PS1_
                                        ; -- End function
	.section	.AMDGPU.csdata,"",@progbits
; Kernel info:
; codeLenInByte = 328
; NumSgprs: 18
; NumVgprs: 14
; NumAgprs: 0
; TotalNumVgprs: 14
; ScratchSize: 0
; MemoryBound: 0
; FloatMode: 240
; IeeeMode: 1
; LDSByteSize: 4096 bytes/workgroup (compile time only)
; SGPRBlocks: 2
; VGPRBlocks: 1
; NumSGPRsForWavesPerEU: 18
; NumVGPRsForWavesPerEU: 14
; AccumOffset: 16
; Occupancy: 8
; WaveLimiterHint : 1
; COMPUTE_PGM_RSRC2:SCRATCH_EN: 0
; COMPUTE_PGM_RSRC2:USER_SGPR: 2
; COMPUTE_PGM_RSRC2:TRAP_HANDLER: 0
; COMPUTE_PGM_RSRC2:TGID_X_EN: 1
; COMPUTE_PGM_RSRC2:TGID_Y_EN: 0
; COMPUTE_PGM_RSRC2:TGID_Z_EN: 0
; COMPUTE_PGM_RSRC2:TIDIG_COMP_CNT: 0
; COMPUTE_PGM_RSRC3_GFX90A:ACCUM_OFFSET: 3
; COMPUTE_PGM_RSRC3_GFX90A:TG_SPLIT: 0
	.section	.text._Z6kernelI20flag_heads_and_tailsxLj256ELj3ELb1ELj100EEvPKT0_PS1_,"axG",@progbits,_Z6kernelI20flag_heads_and_tailsxLj256ELj3ELb1ELj100EEvPKT0_PS1_,comdat
	.protected	_Z6kernelI20flag_heads_and_tailsxLj256ELj3ELb1ELj100EEvPKT0_PS1_ ; -- Begin function _Z6kernelI20flag_heads_and_tailsxLj256ELj3ELb1ELj100EEvPKT0_PS1_
	.globl	_Z6kernelI20flag_heads_and_tailsxLj256ELj3ELb1ELj100EEvPKT0_PS1_
	.p2align	8
	.type	_Z6kernelI20flag_heads_and_tailsxLj256ELj3ELb1ELj100EEvPKT0_PS1_,@function
_Z6kernelI20flag_heads_and_tailsxLj256ELj3ELb1ELj100EEvPKT0_PS1_: ; @_Z6kernelI20flag_heads_and_tailsxLj256ELj3ELb1ELj100EEvPKT0_PS1_
; %bb.0:
	s_load_dwordx4 s[4:7], s[0:1], 0x0
	s_mul_i32 s8, s2, 0x300
	s_mov_b32 s9, 0
	s_lshl_b64 s[10:11], s[8:9], 3
	v_mov_b32_e32 v5, 0
	s_waitcnt lgkmcnt(0)
	s_add_u32 s0, s4, s10
	s_addc_u32 s1, s5, s11
	v_lshlrev_b32_e32 v4, 3, v0
	v_lshl_add_u64 v[6:7], s[0:1], 0, v[4:5]
	s_movk_i32 s2, 0x1000
	v_add_co_u32_e32 v10, vcc, s2, v6
	global_load_dwordx2 v[2:3], v4, s[0:1] offset:2048
	s_nop 0
	v_addc_co_u32_e32 v11, vcc, 0, v7, vcc
	global_load_dwordx2 v[8:9], v4, s[0:1]
	global_load_dwordx2 v[6:7], v[10:11], off
	s_movk_i32 s0, 0xff
	v_cmp_ne_u32_e32 vcc, 0, v0
	v_cmp_ne_u32_e64 s[0:1], s0, v0
	v_add_u32_e32 v1, -8, v4
	v_or_b32_e32 v5, 0x800, v4
	s_movk_i32 s4, 0x64
	s_branch .LBB117_2
.LBB117_1:                              ;   in Loop: Header=BB117_2 Depth=1
	s_or_b64 exec, exec, s[2:3]
	v_cmp_eq_u64_e64 s[2:3], v[12:13], v[8:9]
	v_mov_b32_e32 v15, s9
	v_mov_b32_e32 v13, s9
	v_cndmask_b32_e64 v12, 0, 1, s[2:3]
	v_cmp_eq_u64_e64 s[2:3], v[8:9], v[2:3]
	s_add_i32 s4, s4, -1
	s_cmp_lg_u32 s4, 0
	v_cndmask_b32_e64 v14, 0, 1, s[2:3]
	v_lshl_add_u64 v[8:9], v[8:9], 0, v[14:15]
	v_cmp_eq_u64_e64 s[2:3], v[2:3], v[6:7]
	v_lshl_add_u64 v[8:9], v[8:9], 0, v[12:13]
	v_lshl_add_u64 v[12:13], v[2:3], 0, v[14:15]
	v_cndmask_b32_e64 v14, 0, 1, s[2:3]
	s_waitcnt lgkmcnt(0)
	v_cmp_eq_u64_e64 s[2:3], v[6:7], v[10:11]
	v_lshl_add_u64 v[2:3], v[12:13], 0, v[14:15]
	v_lshl_add_u64 v[12:13], v[6:7], 0, v[14:15]
	v_cndmask_b32_e64 v6, 0, 1, s[2:3]
	v_mov_b32_e32 v7, s9
	v_lshl_add_u64 v[6:7], v[12:13], 0, v[6:7]
	s_barrier
	s_cbranch_scc0 .LBB117_6
.LBB117_2:                              ; =>This Inner Loop Header: Depth=1
	v_mov_b64_e32 v[12:13], 0x7b
	s_waitcnt vmcnt(0)
	ds_write_b64 v4, v[6:7]
	s_waitcnt lgkmcnt(0)
	s_barrier
	s_and_saveexec_b64 s[2:3], vcc
	s_cbranch_execz .LBB117_4
; %bb.3:                                ;   in Loop: Header=BB117_2 Depth=1
	ds_read_b64 v[12:13], v1
.LBB117_4:                              ;   in Loop: Header=BB117_2 Depth=1
	s_or_b64 exec, exec, s[2:3]
	v_mov_b64_e32 v[10:11], 0xea
	ds_write_b64 v4, v[8:9] offset:2048
	s_waitcnt lgkmcnt(0)
	s_barrier
	s_and_saveexec_b64 s[2:3], s[0:1]
	s_cbranch_execz .LBB117_1
; %bb.5:                                ;   in Loop: Header=BB117_2 Depth=1
	ds_read_b64 v[10:11], v5 offset:8
	s_branch .LBB117_1
.LBB117_6:
	s_add_u32 s0, s6, s10
	s_addc_u32 s1, s7, s11
	v_lshlrev_b32_e32 v0, 3, v0
	v_mov_b32_e32 v1, 0
	v_lshl_add_u64 v[4:5], s[0:1], 0, v[0:1]
	global_store_dwordx2 v0, v[8:9], s[0:1]
	global_store_dwordx2 v0, v[2:3], s[0:1] offset:2048
	v_add_co_u32_e32 v0, vcc, 0x1000, v4
	s_nop 1
	v_addc_co_u32_e32 v1, vcc, 0, v5, vcc
	global_store_dwordx2 v[0:1], v[6:7], off
	s_endpgm
	.section	.rodata,"a",@progbits
	.p2align	6, 0x0
	.amdhsa_kernel _Z6kernelI20flag_heads_and_tailsxLj256ELj3ELb1ELj100EEvPKT0_PS1_
		.amdhsa_group_segment_fixed_size 4096
		.amdhsa_private_segment_fixed_size 0
		.amdhsa_kernarg_size 16
		.amdhsa_user_sgpr_count 2
		.amdhsa_user_sgpr_dispatch_ptr 0
		.amdhsa_user_sgpr_queue_ptr 0
		.amdhsa_user_sgpr_kernarg_segment_ptr 1
		.amdhsa_user_sgpr_dispatch_id 0
		.amdhsa_user_sgpr_kernarg_preload_length 0
		.amdhsa_user_sgpr_kernarg_preload_offset 0
		.amdhsa_user_sgpr_private_segment_size 0
		.amdhsa_uses_dynamic_stack 0
		.amdhsa_enable_private_segment 0
		.amdhsa_system_sgpr_workgroup_id_x 1
		.amdhsa_system_sgpr_workgroup_id_y 0
		.amdhsa_system_sgpr_workgroup_id_z 0
		.amdhsa_system_sgpr_workgroup_info 0
		.amdhsa_system_vgpr_workitem_id 0
		.amdhsa_next_free_vgpr 16
		.amdhsa_next_free_sgpr 12
		.amdhsa_accum_offset 16
		.amdhsa_reserve_vcc 1
		.amdhsa_float_round_mode_32 0
		.amdhsa_float_round_mode_16_64 0
		.amdhsa_float_denorm_mode_32 3
		.amdhsa_float_denorm_mode_16_64 3
		.amdhsa_dx10_clamp 1
		.amdhsa_ieee_mode 1
		.amdhsa_fp16_overflow 0
		.amdhsa_tg_split 0
		.amdhsa_exception_fp_ieee_invalid_op 0
		.amdhsa_exception_fp_denorm_src 0
		.amdhsa_exception_fp_ieee_div_zero 0
		.amdhsa_exception_fp_ieee_overflow 0
		.amdhsa_exception_fp_ieee_underflow 0
		.amdhsa_exception_fp_ieee_inexact 0
		.amdhsa_exception_int_div_zero 0
	.end_amdhsa_kernel
	.section	.text._Z6kernelI20flag_heads_and_tailsxLj256ELj3ELb1ELj100EEvPKT0_PS1_,"axG",@progbits,_Z6kernelI20flag_heads_and_tailsxLj256ELj3ELb1ELj100EEvPKT0_PS1_,comdat
.Lfunc_end117:
	.size	_Z6kernelI20flag_heads_and_tailsxLj256ELj3ELb1ELj100EEvPKT0_PS1_, .Lfunc_end117-_Z6kernelI20flag_heads_and_tailsxLj256ELj3ELb1ELj100EEvPKT0_PS1_
                                        ; -- End function
	.section	.AMDGPU.csdata,"",@progbits
; Kernel info:
; codeLenInByte = 436
; NumSgprs: 18
; NumVgprs: 16
; NumAgprs: 0
; TotalNumVgprs: 16
; ScratchSize: 0
; MemoryBound: 0
; FloatMode: 240
; IeeeMode: 1
; LDSByteSize: 4096 bytes/workgroup (compile time only)
; SGPRBlocks: 2
; VGPRBlocks: 1
; NumSGPRsForWavesPerEU: 18
; NumVGPRsForWavesPerEU: 16
; AccumOffset: 16
; Occupancy: 8
; WaveLimiterHint : 1
; COMPUTE_PGM_RSRC2:SCRATCH_EN: 0
; COMPUTE_PGM_RSRC2:USER_SGPR: 2
; COMPUTE_PGM_RSRC2:TRAP_HANDLER: 0
; COMPUTE_PGM_RSRC2:TGID_X_EN: 1
; COMPUTE_PGM_RSRC2:TGID_Y_EN: 0
; COMPUTE_PGM_RSRC2:TGID_Z_EN: 0
; COMPUTE_PGM_RSRC2:TIDIG_COMP_CNT: 0
; COMPUTE_PGM_RSRC3_GFX90A:ACCUM_OFFSET: 3
; COMPUTE_PGM_RSRC3_GFX90A:TG_SPLIT: 0
	.section	.text._Z6kernelI20flag_heads_and_tailsxLj256ELj4ELb1ELj100EEvPKT0_PS1_,"axG",@progbits,_Z6kernelI20flag_heads_and_tailsxLj256ELj4ELb1ELj100EEvPKT0_PS1_,comdat
	.protected	_Z6kernelI20flag_heads_and_tailsxLj256ELj4ELb1ELj100EEvPKT0_PS1_ ; -- Begin function _Z6kernelI20flag_heads_and_tailsxLj256ELj4ELb1ELj100EEvPKT0_PS1_
	.globl	_Z6kernelI20flag_heads_and_tailsxLj256ELj4ELb1ELj100EEvPKT0_PS1_
	.p2align	8
	.type	_Z6kernelI20flag_heads_and_tailsxLj256ELj4ELb1ELj100EEvPKT0_PS1_,@function
_Z6kernelI20flag_heads_and_tailsxLj256ELj4ELb1ELj100EEvPKT0_PS1_: ; @_Z6kernelI20flag_heads_and_tailsxLj256ELj4ELb1ELj100EEvPKT0_PS1_
; %bb.0:
	s_load_dwordx4 s[4:7], s[0:1], 0x0
	s_lshl_b32 s8, s2, 10
	s_mov_b32 s9, 0
	s_lshl_b64 s[10:11], s[8:9], 3
	v_mov_b32_e32 v5, 0
	s_waitcnt lgkmcnt(0)
	s_add_u32 s0, s4, s10
	s_addc_u32 s1, s5, s11
	v_lshlrev_b32_e32 v4, 3, v0
	v_lshl_add_u64 v[6:7], s[0:1], 0, v[4:5]
	s_movk_i32 s2, 0x1000
	v_add_co_u32_e32 v12, vcc, s2, v6
	global_load_dwordx2 v[2:3], v4, s[0:1] offset:2048
	s_nop 0
	v_addc_co_u32_e32 v13, vcc, 0, v7, vcc
	global_load_dwordx2 v[6:7], v[12:13], off
	global_load_dwordx2 v[10:11], v4, s[0:1]
	global_load_dwordx2 v[8:9], v[12:13], off offset:2048
	s_movk_i32 s0, 0xff
	v_cmp_ne_u32_e32 vcc, 0, v0
	v_cmp_ne_u32_e64 s[0:1], s0, v0
	v_add_u32_e32 v1, -8, v4
	v_or_b32_e32 v5, 0x800, v4
	s_movk_i32 s4, 0x64
	s_branch .LBB118_2
.LBB118_1:                              ;   in Loop: Header=BB118_2 Depth=1
	s_or_b64 exec, exec, s[2:3]
	v_cmp_eq_u64_e64 s[2:3], v[14:15], v[10:11]
	v_mov_b32_e32 v17, s9
	v_mov_b32_e32 v15, s9
	v_cndmask_b32_e64 v14, 0, 1, s[2:3]
	v_cmp_eq_u64_e64 s[2:3], v[10:11], v[2:3]
	s_add_i32 s4, s4, -1
	s_cmp_lg_u32 s4, 0
	v_cndmask_b32_e64 v16, 0, 1, s[2:3]
	v_lshl_add_u64 v[10:11], v[10:11], 0, v[16:17]
	v_cmp_eq_u64_e64 s[2:3], v[2:3], v[6:7]
	v_lshl_add_u64 v[10:11], v[10:11], 0, v[14:15]
	v_lshl_add_u64 v[14:15], v[2:3], 0, v[16:17]
	v_cndmask_b32_e64 v16, 0, 1, s[2:3]
	v_cmp_eq_u64_e64 s[2:3], v[6:7], v[8:9]
	v_lshl_add_u64 v[2:3], v[14:15], 0, v[16:17]
	v_lshl_add_u64 v[14:15], v[6:7], 0, v[16:17]
	v_cndmask_b32_e64 v16, 0, 1, s[2:3]
	s_waitcnt lgkmcnt(0)
	v_cmp_eq_u64_e64 s[2:3], v[8:9], v[12:13]
	v_lshl_add_u64 v[6:7], v[14:15], 0, v[16:17]
	v_lshl_add_u64 v[14:15], v[8:9], 0, v[16:17]
	v_cndmask_b32_e64 v8, 0, 1, s[2:3]
	v_mov_b32_e32 v9, s9
	v_lshl_add_u64 v[8:9], v[14:15], 0, v[8:9]
	s_barrier
	s_cbranch_scc0 .LBB118_6
.LBB118_2:                              ; =>This Inner Loop Header: Depth=1
	v_mov_b64_e32 v[14:15], 0x7b
	s_waitcnt vmcnt(0)
	ds_write_b64 v4, v[8:9]
	s_waitcnt lgkmcnt(0)
	s_barrier
	s_and_saveexec_b64 s[2:3], vcc
	s_cbranch_execz .LBB118_4
; %bb.3:                                ;   in Loop: Header=BB118_2 Depth=1
	ds_read_b64 v[14:15], v1
.LBB118_4:                              ;   in Loop: Header=BB118_2 Depth=1
	s_or_b64 exec, exec, s[2:3]
	v_mov_b64_e32 v[12:13], 0xea
	ds_write_b64 v4, v[10:11] offset:2048
	s_waitcnt lgkmcnt(0)
	s_barrier
	s_and_saveexec_b64 s[2:3], s[0:1]
	s_cbranch_execz .LBB118_1
; %bb.5:                                ;   in Loop: Header=BB118_2 Depth=1
	ds_read_b64 v[12:13], v5 offset:8
	s_branch .LBB118_1
.LBB118_6:
	s_add_u32 s0, s6, s10
	s_addc_u32 s1, s7, s11
	v_lshlrev_b32_e32 v0, 3, v0
	v_mov_b32_e32 v1, 0
	v_lshl_add_u64 v[4:5], s[0:1], 0, v[0:1]
	global_store_dwordx2 v0, v[10:11], s[0:1]
	global_store_dwordx2 v0, v[2:3], s[0:1] offset:2048
	v_add_co_u32_e32 v0, vcc, 0x1000, v4
	s_nop 1
	v_addc_co_u32_e32 v1, vcc, 0, v5, vcc
	global_store_dwordx2 v[0:1], v[6:7], off
	global_store_dwordx2 v[0:1], v[8:9], off offset:2048
	s_endpgm
	.section	.rodata,"a",@progbits
	.p2align	6, 0x0
	.amdhsa_kernel _Z6kernelI20flag_heads_and_tailsxLj256ELj4ELb1ELj100EEvPKT0_PS1_
		.amdhsa_group_segment_fixed_size 4096
		.amdhsa_private_segment_fixed_size 0
		.amdhsa_kernarg_size 16
		.amdhsa_user_sgpr_count 2
		.amdhsa_user_sgpr_dispatch_ptr 0
		.amdhsa_user_sgpr_queue_ptr 0
		.amdhsa_user_sgpr_kernarg_segment_ptr 1
		.amdhsa_user_sgpr_dispatch_id 0
		.amdhsa_user_sgpr_kernarg_preload_length 0
		.amdhsa_user_sgpr_kernarg_preload_offset 0
		.amdhsa_user_sgpr_private_segment_size 0
		.amdhsa_uses_dynamic_stack 0
		.amdhsa_enable_private_segment 0
		.amdhsa_system_sgpr_workgroup_id_x 1
		.amdhsa_system_sgpr_workgroup_id_y 0
		.amdhsa_system_sgpr_workgroup_id_z 0
		.amdhsa_system_sgpr_workgroup_info 0
		.amdhsa_system_vgpr_workitem_id 0
		.amdhsa_next_free_vgpr 18
		.amdhsa_next_free_sgpr 12
		.amdhsa_accum_offset 20
		.amdhsa_reserve_vcc 1
		.amdhsa_float_round_mode_32 0
		.amdhsa_float_round_mode_16_64 0
		.amdhsa_float_denorm_mode_32 3
		.amdhsa_float_denorm_mode_16_64 3
		.amdhsa_dx10_clamp 1
		.amdhsa_ieee_mode 1
		.amdhsa_fp16_overflow 0
		.amdhsa_tg_split 0
		.amdhsa_exception_fp_ieee_invalid_op 0
		.amdhsa_exception_fp_denorm_src 0
		.amdhsa_exception_fp_ieee_div_zero 0
		.amdhsa_exception_fp_ieee_overflow 0
		.amdhsa_exception_fp_ieee_underflow 0
		.amdhsa_exception_fp_ieee_inexact 0
		.amdhsa_exception_int_div_zero 0
	.end_amdhsa_kernel
	.section	.text._Z6kernelI20flag_heads_and_tailsxLj256ELj4ELb1ELj100EEvPKT0_PS1_,"axG",@progbits,_Z6kernelI20flag_heads_and_tailsxLj256ELj4ELb1ELj100EEvPKT0_PS1_,comdat
.Lfunc_end118:
	.size	_Z6kernelI20flag_heads_and_tailsxLj256ELj4ELb1ELj100EEvPKT0_PS1_, .Lfunc_end118-_Z6kernelI20flag_heads_and_tailsxLj256ELj4ELb1ELj100EEvPKT0_PS1_
                                        ; -- End function
	.section	.AMDGPU.csdata,"",@progbits
; Kernel info:
; codeLenInByte = 480
; NumSgprs: 18
; NumVgprs: 18
; NumAgprs: 0
; TotalNumVgprs: 18
; ScratchSize: 0
; MemoryBound: 0
; FloatMode: 240
; IeeeMode: 1
; LDSByteSize: 4096 bytes/workgroup (compile time only)
; SGPRBlocks: 2
; VGPRBlocks: 2
; NumSGPRsForWavesPerEU: 18
; NumVGPRsForWavesPerEU: 18
; AccumOffset: 20
; Occupancy: 8
; WaveLimiterHint : 1
; COMPUTE_PGM_RSRC2:SCRATCH_EN: 0
; COMPUTE_PGM_RSRC2:USER_SGPR: 2
; COMPUTE_PGM_RSRC2:TRAP_HANDLER: 0
; COMPUTE_PGM_RSRC2:TGID_X_EN: 1
; COMPUTE_PGM_RSRC2:TGID_Y_EN: 0
; COMPUTE_PGM_RSRC2:TGID_Z_EN: 0
; COMPUTE_PGM_RSRC2:TIDIG_COMP_CNT: 0
; COMPUTE_PGM_RSRC3_GFX90A:ACCUM_OFFSET: 4
; COMPUTE_PGM_RSRC3_GFX90A:TG_SPLIT: 0
	.section	.text._Z6kernelI20flag_heads_and_tailsxLj256ELj8ELb1ELj100EEvPKT0_PS1_,"axG",@progbits,_Z6kernelI20flag_heads_and_tailsxLj256ELj8ELb1ELj100EEvPKT0_PS1_,comdat
	.protected	_Z6kernelI20flag_heads_and_tailsxLj256ELj8ELb1ELj100EEvPKT0_PS1_ ; -- Begin function _Z6kernelI20flag_heads_and_tailsxLj256ELj8ELb1ELj100EEvPKT0_PS1_
	.globl	_Z6kernelI20flag_heads_and_tailsxLj256ELj8ELb1ELj100EEvPKT0_PS1_
	.p2align	8
	.type	_Z6kernelI20flag_heads_and_tailsxLj256ELj8ELb1ELj100EEvPKT0_PS1_,@function
_Z6kernelI20flag_heads_and_tailsxLj256ELj8ELb1ELj100EEvPKT0_PS1_: ; @_Z6kernelI20flag_heads_and_tailsxLj256ELj8ELb1ELj100EEvPKT0_PS1_
; %bb.0:
	s_load_dwordx4 s[4:7], s[0:1], 0x0
	s_lshl_b32 s8, s2, 11
	s_mov_b32 s9, 0
	s_lshl_b64 s[10:11], s[8:9], 3
	v_mov_b32_e32 v7, 0
	s_waitcnt lgkmcnt(0)
	s_add_u32 s0, s4, s10
	s_addc_u32 s1, s5, s11
	v_lshlrev_b32_e32 v6, 3, v0
	v_lshl_add_u64 v[8:9], s[0:1], 0, v[6:7]
	s_movk_i32 s2, 0x1000
	v_add_co_u32_e32 v20, vcc, s2, v8
	s_movk_i32 s2, 0x2000
	s_nop 0
	v_addc_co_u32_e32 v21, vcc, 0, v9, vcc
	v_add_co_u32_e32 v10, vcc, s2, v8
	s_movk_i32 s2, 0x3000
	s_nop 0
	v_addc_co_u32_e32 v11, vcc, 0, v9, vcc
	v_add_co_u32_e32 v22, vcc, s2, v8
	global_load_dwordx2 v[14:15], v6, s[0:1] offset:2048
	global_load_dwordx2 v[12:13], v[10:11], off offset:-4096
	global_load_dwordx2 v[4:5], v[10:11], off
	global_load_dwordx2 v[2:3], v[10:11], off offset:2048
	v_addc_co_u32_e32 v23, vcc, 0, v9, vcc
	global_load_dwordx2 v[16:17], v[20:21], off offset:2048
	global_load_dwordx2 v[8:9], v[22:23], off
	global_load_dwordx2 v[18:19], v6, s[0:1]
	global_load_dwordx2 v[10:11], v[22:23], off offset:2048
	s_movk_i32 s0, 0xff
	v_cmp_ne_u32_e32 vcc, 0, v0
	v_cmp_ne_u32_e64 s[0:1], s0, v0
	v_add_u32_e32 v1, -8, v6
	v_or_b32_e32 v7, 0x800, v6
	s_movk_i32 s4, 0x64
	s_branch .LBB119_2
.LBB119_1:                              ;   in Loop: Header=BB119_2 Depth=1
	s_or_b64 exec, exec, s[2:3]
	v_cmp_eq_u64_e64 s[2:3], v[22:23], v[18:19]
	v_mov_b32_e32 v25, s9
	v_mov_b32_e32 v23, s9
	v_cndmask_b32_e64 v22, 0, 1, s[2:3]
	v_cmp_eq_u64_e64 s[2:3], v[18:19], v[14:15]
	s_add_i32 s4, s4, -1
	s_cmp_lg_u32 s4, 0
	v_cndmask_b32_e64 v24, 0, 1, s[2:3]
	v_lshl_add_u64 v[18:19], v[18:19], 0, v[24:25]
	v_cmp_eq_u64_e64 s[2:3], v[14:15], v[12:13]
	v_lshl_add_u64 v[18:19], v[18:19], 0, v[22:23]
	s_waitcnt lgkmcnt(0)
	v_cndmask_b32_e64 v22, 0, 1, s[2:3]
	v_lshl_add_u64 v[14:15], v[14:15], 0, v[22:23]
	v_cmp_eq_u64_e64 s[2:3], v[12:13], v[16:17]
	v_lshl_add_u64 v[14:15], v[14:15], 0, v[24:25]
	s_barrier
	v_cndmask_b32_e64 v24, 0, 1, s[2:3]
	v_lshl_add_u64 v[12:13], v[12:13], 0, v[24:25]
	v_cmp_eq_u64_e64 s[2:3], v[16:17], v[4:5]
	v_lshl_add_u64 v[12:13], v[12:13], 0, v[22:23]
	s_nop 0
	v_cndmask_b32_e64 v22, 0, 1, s[2:3]
	v_lshl_add_u64 v[16:17], v[16:17], 0, v[22:23]
	v_cmp_eq_u64_e64 s[2:3], v[4:5], v[2:3]
	v_lshl_add_u64 v[16:17], v[16:17], 0, v[24:25]
	s_nop 0
	;; [unrolled: 5-line block ×4, first 2 shown]
	v_cndmask_b32_e64 v24, 0, 1, s[2:3]
	v_cmp_eq_u64_e64 s[2:3], v[10:11], v[20:21]
	v_lshl_add_u64 v[8:9], v[8:9], 0, v[24:25]
	v_mov_b32_e32 v21, s9
	v_cndmask_b32_e64 v20, 0, 1, s[2:3]
	v_lshl_add_u64 v[10:11], v[10:11], 0, v[24:25]
	v_lshl_add_u64 v[8:9], v[8:9], 0, v[22:23]
	;; [unrolled: 1-line block ×3, first 2 shown]
	s_cbranch_scc0 .LBB119_6
.LBB119_2:                              ; =>This Inner Loop Header: Depth=1
	v_mov_b64_e32 v[22:23], 0x7b
	s_waitcnt vmcnt(0)
	ds_write_b64 v6, v[10:11]
	s_waitcnt lgkmcnt(0)
	s_barrier
	s_and_saveexec_b64 s[2:3], vcc
	s_cbranch_execz .LBB119_4
; %bb.3:                                ;   in Loop: Header=BB119_2 Depth=1
	ds_read_b64 v[22:23], v1
.LBB119_4:                              ;   in Loop: Header=BB119_2 Depth=1
	s_or_b64 exec, exec, s[2:3]
	v_mov_b64_e32 v[20:21], 0xea
	ds_write_b64 v6, v[18:19] offset:2048
	s_waitcnt lgkmcnt(0)
	s_barrier
	s_and_saveexec_b64 s[2:3], s[0:1]
	s_cbranch_execz .LBB119_1
; %bb.5:                                ;   in Loop: Header=BB119_2 Depth=1
	ds_read_b64 v[20:21], v7 offset:8
	s_branch .LBB119_1
.LBB119_6:
	s_add_u32 s0, s6, s10
	s_addc_u32 s1, s7, s11
	v_lshlrev_b32_e32 v0, 3, v0
	v_mov_b32_e32 v1, 0
	v_lshl_add_u64 v[6:7], s[0:1], 0, v[0:1]
	global_store_dwordx2 v0, v[18:19], s[0:1]
	global_store_dwordx2 v0, v[14:15], s[0:1] offset:2048
	v_add_co_u32_e32 v0, vcc, 0x1000, v6
	s_nop 1
	v_addc_co_u32_e32 v1, vcc, 0, v7, vcc
	global_store_dwordx2 v[0:1], v[12:13], off
	global_store_dwordx2 v[0:1], v[16:17], off offset:2048
	v_add_co_u32_e32 v0, vcc, 0x2000, v6
	s_nop 1
	v_addc_co_u32_e32 v1, vcc, 0, v7, vcc
	global_store_dwordx2 v[0:1], v[4:5], off
	global_store_dwordx2 v[0:1], v[2:3], off offset:2048
	;; [unrolled: 5-line block ×3, first 2 shown]
	s_endpgm
	.section	.rodata,"a",@progbits
	.p2align	6, 0x0
	.amdhsa_kernel _Z6kernelI20flag_heads_and_tailsxLj256ELj8ELb1ELj100EEvPKT0_PS1_
		.amdhsa_group_segment_fixed_size 4096
		.amdhsa_private_segment_fixed_size 0
		.amdhsa_kernarg_size 16
		.amdhsa_user_sgpr_count 2
		.amdhsa_user_sgpr_dispatch_ptr 0
		.amdhsa_user_sgpr_queue_ptr 0
		.amdhsa_user_sgpr_kernarg_segment_ptr 1
		.amdhsa_user_sgpr_dispatch_id 0
		.amdhsa_user_sgpr_kernarg_preload_length 0
		.amdhsa_user_sgpr_kernarg_preload_offset 0
		.amdhsa_user_sgpr_private_segment_size 0
		.amdhsa_uses_dynamic_stack 0
		.amdhsa_enable_private_segment 0
		.amdhsa_system_sgpr_workgroup_id_x 1
		.amdhsa_system_sgpr_workgroup_id_y 0
		.amdhsa_system_sgpr_workgroup_id_z 0
		.amdhsa_system_sgpr_workgroup_info 0
		.amdhsa_system_vgpr_workitem_id 0
		.amdhsa_next_free_vgpr 26
		.amdhsa_next_free_sgpr 12
		.amdhsa_accum_offset 28
		.amdhsa_reserve_vcc 1
		.amdhsa_float_round_mode_32 0
		.amdhsa_float_round_mode_16_64 0
		.amdhsa_float_denorm_mode_32 3
		.amdhsa_float_denorm_mode_16_64 3
		.amdhsa_dx10_clamp 1
		.amdhsa_ieee_mode 1
		.amdhsa_fp16_overflow 0
		.amdhsa_tg_split 0
		.amdhsa_exception_fp_ieee_invalid_op 0
		.amdhsa_exception_fp_denorm_src 0
		.amdhsa_exception_fp_ieee_div_zero 0
		.amdhsa_exception_fp_ieee_overflow 0
		.amdhsa_exception_fp_ieee_underflow 0
		.amdhsa_exception_fp_ieee_inexact 0
		.amdhsa_exception_int_div_zero 0
	.end_amdhsa_kernel
	.section	.text._Z6kernelI20flag_heads_and_tailsxLj256ELj8ELb1ELj100EEvPKT0_PS1_,"axG",@progbits,_Z6kernelI20flag_heads_and_tailsxLj256ELj8ELb1ELj100EEvPKT0_PS1_,comdat
.Lfunc_end119:
	.size	_Z6kernelI20flag_heads_and_tailsxLj256ELj8ELb1ELj100EEvPKT0_PS1_, .Lfunc_end119-_Z6kernelI20flag_heads_and_tailsxLj256ELj8ELb1ELj100EEvPKT0_PS1_
                                        ; -- End function
	.section	.AMDGPU.csdata,"",@progbits
; Kernel info:
; codeLenInByte = 748
; NumSgprs: 18
; NumVgprs: 26
; NumAgprs: 0
; TotalNumVgprs: 26
; ScratchSize: 0
; MemoryBound: 0
; FloatMode: 240
; IeeeMode: 1
; LDSByteSize: 4096 bytes/workgroup (compile time only)
; SGPRBlocks: 2
; VGPRBlocks: 3
; NumSGPRsForWavesPerEU: 18
; NumVGPRsForWavesPerEU: 26
; AccumOffset: 28
; Occupancy: 8
; WaveLimiterHint : 1
; COMPUTE_PGM_RSRC2:SCRATCH_EN: 0
; COMPUTE_PGM_RSRC2:USER_SGPR: 2
; COMPUTE_PGM_RSRC2:TRAP_HANDLER: 0
; COMPUTE_PGM_RSRC2:TGID_X_EN: 1
; COMPUTE_PGM_RSRC2:TGID_Y_EN: 0
; COMPUTE_PGM_RSRC2:TGID_Z_EN: 0
; COMPUTE_PGM_RSRC2:TIDIG_COMP_CNT: 0
; COMPUTE_PGM_RSRC3_GFX90A:ACCUM_OFFSET: 6
; COMPUTE_PGM_RSRC3_GFX90A:TG_SPLIT: 0
	.text
	.p2alignl 6, 3212836864
	.fill 256, 4, 3212836864
	.type	__hip_cuid_7ca0d17e06e8b983,@object ; @__hip_cuid_7ca0d17e06e8b983
	.section	.bss,"aw",@nobits
	.globl	__hip_cuid_7ca0d17e06e8b983
__hip_cuid_7ca0d17e06e8b983:
	.byte	0                               ; 0x0
	.size	__hip_cuid_7ca0d17e06e8b983, 1

	.ident	"AMD clang version 19.0.0git (https://github.com/RadeonOpenCompute/llvm-project roc-6.4.0 25133 c7fe45cf4b819c5991fe208aaa96edf142730f1d)"
	.section	".note.GNU-stack","",@progbits
	.addrsig
	.addrsig_sym __hip_cuid_7ca0d17e06e8b983
	.amdgpu_metadata
---
amdhsa.kernels:
  - .agpr_count:     0
    .args:
      - .address_space:  global
        .offset:         0
        .size:           8
        .value_kind:     global_buffer
      - .address_space:  global
        .offset:         8
        .size:           8
        .value_kind:     global_buffer
    .group_segment_fixed_size: 2048
    .kernarg_segment_align: 8
    .kernarg_segment_size: 16
    .language:       OpenCL C
    .language_version:
      - 2
      - 0
    .max_flat_workgroup_size: 256
    .name:           _Z6kernelI10flag_headsiLj256ELj1ELb0ELj100EEvPKT0_PS1_
    .private_segment_fixed_size: 0
    .sgpr_count:     15
    .sgpr_spill_count: 0
    .symbol:         _Z6kernelI10flag_headsiLj256ELj1ELb0ELj100EEvPKT0_PS1_.kd
    .uniform_work_group_size: 1
    .uses_dynamic_stack: false
    .vgpr_count:     5
    .vgpr_spill_count: 0
    .wavefront_size: 64
  - .agpr_count:     0
    .args:
      - .address_space:  global
        .offset:         0
        .size:           8
        .value_kind:     global_buffer
      - .address_space:  global
        .offset:         8
        .size:           8
        .value_kind:     global_buffer
    .group_segment_fixed_size: 2048
    .kernarg_segment_align: 8
    .kernarg_segment_size: 16
    .language:       OpenCL C
    .language_version:
      - 2
      - 0
    .max_flat_workgroup_size: 256
    .name:           _Z6kernelI10flag_headsiLj256ELj2ELb0ELj100EEvPKT0_PS1_
    .private_segment_fixed_size: 0
    .sgpr_count:     15
    .sgpr_spill_count: 0
    .symbol:         _Z6kernelI10flag_headsiLj256ELj2ELb0ELj100EEvPKT0_PS1_.kd
    .uniform_work_group_size: 1
    .uses_dynamic_stack: false
    .vgpr_count:     7
    .vgpr_spill_count: 0
    .wavefront_size: 64
  - .agpr_count:     0
    .args:
      - .address_space:  global
        .offset:         0
        .size:           8
        .value_kind:     global_buffer
      - .address_space:  global
        .offset:         8
        .size:           8
        .value_kind:     global_buffer
    .group_segment_fixed_size: 2048
    .kernarg_segment_align: 8
    .kernarg_segment_size: 16
    .language:       OpenCL C
    .language_version:
      - 2
      - 0
    .max_flat_workgroup_size: 256
    .name:           _Z6kernelI10flag_headsiLj256ELj3ELb0ELj100EEvPKT0_PS1_
    .private_segment_fixed_size: 0
    .sgpr_count:     16
    .sgpr_spill_count: 0
    .symbol:         _Z6kernelI10flag_headsiLj256ELj3ELb0ELj100EEvPKT0_PS1_.kd
    .uniform_work_group_size: 1
    .uses_dynamic_stack: false
    .vgpr_count:     10
    .vgpr_spill_count: 0
    .wavefront_size: 64
  - .agpr_count:     0
    .args:
      - .address_space:  global
        .offset:         0
        .size:           8
        .value_kind:     global_buffer
      - .address_space:  global
        .offset:         8
        .size:           8
        .value_kind:     global_buffer
    .group_segment_fixed_size: 2048
    .kernarg_segment_align: 8
    .kernarg_segment_size: 16
    .language:       OpenCL C
    .language_version:
      - 2
      - 0
    .max_flat_workgroup_size: 256
    .name:           _Z6kernelI10flag_headsiLj256ELj4ELb0ELj100EEvPKT0_PS1_
    .private_segment_fixed_size: 0
    .sgpr_count:     16
    .sgpr_spill_count: 0
    .symbol:         _Z6kernelI10flag_headsiLj256ELj4ELb0ELj100EEvPKT0_PS1_.kd
    .uniform_work_group_size: 1
    .uses_dynamic_stack: false
    .vgpr_count:     10
    .vgpr_spill_count: 0
    .wavefront_size: 64
  - .agpr_count:     0
    .args:
      - .address_space:  global
        .offset:         0
        .size:           8
        .value_kind:     global_buffer
      - .address_space:  global
        .offset:         8
        .size:           8
        .value_kind:     global_buffer
    .group_segment_fixed_size: 2048
    .kernarg_segment_align: 8
    .kernarg_segment_size: 16
    .language:       OpenCL C
    .language_version:
      - 2
      - 0
    .max_flat_workgroup_size: 256
    .name:           _Z6kernelI10flag_headsiLj256ELj8ELb0ELj100EEvPKT0_PS1_
    .private_segment_fixed_size: 0
    .sgpr_count:     25
    .sgpr_spill_count: 0
    .symbol:         _Z6kernelI10flag_headsiLj256ELj8ELb0ELj100EEvPKT0_PS1_.kd
    .uniform_work_group_size: 1
    .uses_dynamic_stack: false
    .vgpr_count:     14
    .vgpr_spill_count: 0
    .wavefront_size: 64
  - .agpr_count:     0
    .args:
      - .address_space:  global
        .offset:         0
        .size:           8
        .value_kind:     global_buffer
      - .address_space:  global
        .offset:         8
        .size:           8
        .value_kind:     global_buffer
    .group_segment_fixed_size: 2048
    .kernarg_segment_align: 8
    .kernarg_segment_size: 16
    .language:       OpenCL C
    .language_version:
      - 2
      - 0
    .max_flat_workgroup_size: 256
    .name:           _Z6kernelI10flag_headsiLj256ELj1ELb1ELj100EEvPKT0_PS1_
    .private_segment_fixed_size: 0
    .sgpr_count:     14
    .sgpr_spill_count: 0
    .symbol:         _Z6kernelI10flag_headsiLj256ELj1ELb1ELj100EEvPKT0_PS1_.kd
    .uniform_work_group_size: 1
    .uses_dynamic_stack: false
    .vgpr_count:     5
    .vgpr_spill_count: 0
    .wavefront_size: 64
  - .agpr_count:     0
    .args:
      - .address_space:  global
        .offset:         0
        .size:           8
        .value_kind:     global_buffer
      - .address_space:  global
        .offset:         8
        .size:           8
        .value_kind:     global_buffer
    .group_segment_fixed_size: 2048
    .kernarg_segment_align: 8
    .kernarg_segment_size: 16
    .language:       OpenCL C
    .language_version:
      - 2
      - 0
    .max_flat_workgroup_size: 256
    .name:           _Z6kernelI10flag_headsiLj256ELj2ELb1ELj100EEvPKT0_PS1_
    .private_segment_fixed_size: 0
    .sgpr_count:     16
    .sgpr_spill_count: 0
    .symbol:         _Z6kernelI10flag_headsiLj256ELj2ELb1ELj100EEvPKT0_PS1_.kd
    .uniform_work_group_size: 1
    .uses_dynamic_stack: false
    .vgpr_count:     6
    .vgpr_spill_count: 0
    .wavefront_size: 64
  - .agpr_count:     0
    .args:
      - .address_space:  global
        .offset:         0
        .size:           8
        .value_kind:     global_buffer
      - .address_space:  global
        .offset:         8
        .size:           8
        .value_kind:     global_buffer
    .group_segment_fixed_size: 2048
    .kernarg_segment_align: 8
    .kernarg_segment_size: 16
    .language:       OpenCL C
    .language_version:
      - 2
      - 0
    .max_flat_workgroup_size: 256
    .name:           _Z6kernelI10flag_headsiLj256ELj3ELb1ELj100EEvPKT0_PS1_
    .private_segment_fixed_size: 0
    .sgpr_count:     17
    .sgpr_spill_count: 0
    .symbol:         _Z6kernelI10flag_headsiLj256ELj3ELb1ELj100EEvPKT0_PS1_.kd
    .uniform_work_group_size: 1
    .uses_dynamic_stack: false
    .vgpr_count:     7
    .vgpr_spill_count: 0
    .wavefront_size: 64
  - .agpr_count:     0
    .args:
      - .address_space:  global
        .offset:         0
        .size:           8
        .value_kind:     global_buffer
      - .address_space:  global
        .offset:         8
        .size:           8
        .value_kind:     global_buffer
    .group_segment_fixed_size: 2048
    .kernarg_segment_align: 8
    .kernarg_segment_size: 16
    .language:       OpenCL C
    .language_version:
      - 2
      - 0
    .max_flat_workgroup_size: 256
    .name:           _Z6kernelI10flag_headsiLj256ELj4ELb1ELj100EEvPKT0_PS1_
    .private_segment_fixed_size: 0
    .sgpr_count:     20
    .sgpr_spill_count: 0
    .symbol:         _Z6kernelI10flag_headsiLj256ELj4ELb1ELj100EEvPKT0_PS1_.kd
    .uniform_work_group_size: 1
    .uses_dynamic_stack: false
    .vgpr_count:     8
    .vgpr_spill_count: 0
    .wavefront_size: 64
  - .agpr_count:     0
    .args:
      - .address_space:  global
        .offset:         0
        .size:           8
        .value_kind:     global_buffer
      - .address_space:  global
        .offset:         8
        .size:           8
        .value_kind:     global_buffer
    .group_segment_fixed_size: 2048
    .kernarg_segment_align: 8
    .kernarg_segment_size: 16
    .language:       OpenCL C
    .language_version:
      - 2
      - 0
    .max_flat_workgroup_size: 256
    .name:           _Z6kernelI10flag_headsiLj256ELj8ELb1ELj100EEvPKT0_PS1_
    .private_segment_fixed_size: 0
    .sgpr_count:     28
    .sgpr_spill_count: 0
    .symbol:         _Z6kernelI10flag_headsiLj256ELj8ELb1ELj100EEvPKT0_PS1_.kd
    .uniform_work_group_size: 1
    .uses_dynamic_stack: false
    .vgpr_count:     14
    .vgpr_spill_count: 0
    .wavefront_size: 64
  - .agpr_count:     0
    .args:
      - .address_space:  global
        .offset:         0
        .size:           8
        .value_kind:     global_buffer
      - .address_space:  global
        .offset:         8
        .size:           8
        .value_kind:     global_buffer
    .group_segment_fixed_size: 512
    .kernarg_segment_align: 8
    .kernarg_segment_size: 16
    .language:       OpenCL C
    .language_version:
      - 2
      - 0
    .max_flat_workgroup_size: 256
    .name:           _Z6kernelI10flag_headsaLj256ELj1ELb0ELj100EEvPKT0_PS1_
    .private_segment_fixed_size: 0
    .sgpr_count:     14
    .sgpr_spill_count: 0
    .symbol:         _Z6kernelI10flag_headsaLj256ELj1ELb0ELj100EEvPKT0_PS1_.kd
    .uniform_work_group_size: 1
    .uses_dynamic_stack: false
    .vgpr_count:     5
    .vgpr_spill_count: 0
    .wavefront_size: 64
  - .agpr_count:     0
    .args:
      - .address_space:  global
        .offset:         0
        .size:           8
        .value_kind:     global_buffer
      - .address_space:  global
        .offset:         8
        .size:           8
        .value_kind:     global_buffer
    .group_segment_fixed_size: 512
    .kernarg_segment_align: 8
    .kernarg_segment_size: 16
    .language:       OpenCL C
    .language_version:
      - 2
      - 0
    .max_flat_workgroup_size: 256
    .name:           _Z6kernelI10flag_headsaLj256ELj2ELb0ELj100EEvPKT0_PS1_
    .private_segment_fixed_size: 0
    .sgpr_count:     14
    .sgpr_spill_count: 0
    .symbol:         _Z6kernelI10flag_headsaLj256ELj2ELb0ELj100EEvPKT0_PS1_.kd
    .uniform_work_group_size: 1
    .uses_dynamic_stack: false
    .vgpr_count:     7
    .vgpr_spill_count: 0
    .wavefront_size: 64
  - .agpr_count:     0
    .args:
      - .address_space:  global
        .offset:         0
        .size:           8
        .value_kind:     global_buffer
      - .address_space:  global
        .offset:         8
        .size:           8
        .value_kind:     global_buffer
    .group_segment_fixed_size: 512
    .kernarg_segment_align: 8
    .kernarg_segment_size: 16
    .language:       OpenCL C
    .language_version:
      - 2
      - 0
    .max_flat_workgroup_size: 256
    .name:           _Z6kernelI10flag_headsaLj256ELj3ELb0ELj100EEvPKT0_PS1_
    .private_segment_fixed_size: 0
    .sgpr_count:     16
    .sgpr_spill_count: 0
    .symbol:         _Z6kernelI10flag_headsaLj256ELj3ELb0ELj100EEvPKT0_PS1_.kd
    .uniform_work_group_size: 1
    .uses_dynamic_stack: false
    .vgpr_count:     10
    .vgpr_spill_count: 0
    .wavefront_size: 64
  - .agpr_count:     0
    .args:
      - .address_space:  global
        .offset:         0
        .size:           8
        .value_kind:     global_buffer
      - .address_space:  global
        .offset:         8
        .size:           8
        .value_kind:     global_buffer
    .group_segment_fixed_size: 512
    .kernarg_segment_align: 8
    .kernarg_segment_size: 16
    .language:       OpenCL C
    .language_version:
      - 2
      - 0
    .max_flat_workgroup_size: 256
    .name:           _Z6kernelI10flag_headsaLj256ELj4ELb0ELj100EEvPKT0_PS1_
    .private_segment_fixed_size: 0
    .sgpr_count:     16
    .sgpr_spill_count: 0
    .symbol:         _Z6kernelI10flag_headsaLj256ELj4ELb0ELj100EEvPKT0_PS1_.kd
    .uniform_work_group_size: 1
    .uses_dynamic_stack: false
    .vgpr_count:     10
    .vgpr_spill_count: 0
    .wavefront_size: 64
  - .agpr_count:     0
    .args:
      - .address_space:  global
        .offset:         0
        .size:           8
        .value_kind:     global_buffer
      - .address_space:  global
        .offset:         8
        .size:           8
        .value_kind:     global_buffer
    .group_segment_fixed_size: 512
    .kernarg_segment_align: 8
    .kernarg_segment_size: 16
    .language:       OpenCL C
    .language_version:
      - 2
      - 0
    .max_flat_workgroup_size: 256
    .name:           _Z6kernelI10flag_headsaLj256ELj8ELb0ELj100EEvPKT0_PS1_
    .private_segment_fixed_size: 0
    .sgpr_count:     16
    .sgpr_spill_count: 0
    .symbol:         _Z6kernelI10flag_headsaLj256ELj8ELb0ELj100EEvPKT0_PS1_.kd
    .uniform_work_group_size: 1
    .uses_dynamic_stack: false
    .vgpr_count:     17
    .vgpr_spill_count: 0
    .wavefront_size: 64
  - .agpr_count:     0
    .args:
      - .address_space:  global
        .offset:         0
        .size:           8
        .value_kind:     global_buffer
      - .address_space:  global
        .offset:         8
        .size:           8
        .value_kind:     global_buffer
    .group_segment_fixed_size: 512
    .kernarg_segment_align: 8
    .kernarg_segment_size: 16
    .language:       OpenCL C
    .language_version:
      - 2
      - 0
    .max_flat_workgroup_size: 256
    .name:           _Z6kernelI10flag_headsaLj256ELj1ELb1ELj100EEvPKT0_PS1_
    .private_segment_fixed_size: 0
    .sgpr_count:     14
    .sgpr_spill_count: 0
    .symbol:         _Z6kernelI10flag_headsaLj256ELj1ELb1ELj100EEvPKT0_PS1_.kd
    .uniform_work_group_size: 1
    .uses_dynamic_stack: false
    .vgpr_count:     5
    .vgpr_spill_count: 0
    .wavefront_size: 64
  - .agpr_count:     0
    .args:
      - .address_space:  global
        .offset:         0
        .size:           8
        .value_kind:     global_buffer
      - .address_space:  global
        .offset:         8
        .size:           8
        .value_kind:     global_buffer
    .group_segment_fixed_size: 512
    .kernarg_segment_align: 8
    .kernarg_segment_size: 16
    .language:       OpenCL C
    .language_version:
      - 2
      - 0
    .max_flat_workgroup_size: 256
    .name:           _Z6kernelI10flag_headsaLj256ELj2ELb1ELj100EEvPKT0_PS1_
    .private_segment_fixed_size: 0
    .sgpr_count:     14
    .sgpr_spill_count: 0
    .symbol:         _Z6kernelI10flag_headsaLj256ELj2ELb1ELj100EEvPKT0_PS1_.kd
    .uniform_work_group_size: 1
    .uses_dynamic_stack: false
    .vgpr_count:     7
    .vgpr_spill_count: 0
    .wavefront_size: 64
  - .agpr_count:     0
    .args:
      - .address_space:  global
        .offset:         0
        .size:           8
        .value_kind:     global_buffer
      - .address_space:  global
        .offset:         8
        .size:           8
        .value_kind:     global_buffer
    .group_segment_fixed_size: 512
    .kernarg_segment_align: 8
    .kernarg_segment_size: 16
    .language:       OpenCL C
    .language_version:
      - 2
      - 0
    .max_flat_workgroup_size: 256
    .name:           _Z6kernelI10flag_headsaLj256ELj3ELb1ELj100EEvPKT0_PS1_
    .private_segment_fixed_size: 0
    .sgpr_count:     14
    .sgpr_spill_count: 0
    .symbol:         _Z6kernelI10flag_headsaLj256ELj3ELb1ELj100EEvPKT0_PS1_.kd
    .uniform_work_group_size: 1
    .uses_dynamic_stack: false
    .vgpr_count:     9
    .vgpr_spill_count: 0
    .wavefront_size: 64
  - .agpr_count:     0
    .args:
      - .address_space:  global
        .offset:         0
        .size:           8
        .value_kind:     global_buffer
      - .address_space:  global
        .offset:         8
        .size:           8
        .value_kind:     global_buffer
    .group_segment_fixed_size: 512
    .kernarg_segment_align: 8
    .kernarg_segment_size: 16
    .language:       OpenCL C
    .language_version:
      - 2
      - 0
    .max_flat_workgroup_size: 256
    .name:           _Z6kernelI10flag_headsaLj256ELj4ELb1ELj100EEvPKT0_PS1_
    .private_segment_fixed_size: 0
    .sgpr_count:     14
    .sgpr_spill_count: 0
    .symbol:         _Z6kernelI10flag_headsaLj256ELj4ELb1ELj100EEvPKT0_PS1_.kd
    .uniform_work_group_size: 1
    .uses_dynamic_stack: false
    .vgpr_count:     10
    .vgpr_spill_count: 0
    .wavefront_size: 64
  - .agpr_count:     0
    .args:
      - .address_space:  global
        .offset:         0
        .size:           8
        .value_kind:     global_buffer
      - .address_space:  global
        .offset:         8
        .size:           8
        .value_kind:     global_buffer
    .group_segment_fixed_size: 512
    .kernarg_segment_align: 8
    .kernarg_segment_size: 16
    .language:       OpenCL C
    .language_version:
      - 2
      - 0
    .max_flat_workgroup_size: 256
    .name:           _Z6kernelI10flag_headsaLj256ELj8ELb1ELj100EEvPKT0_PS1_
    .private_segment_fixed_size: 0
    .sgpr_count:     14
    .sgpr_spill_count: 0
    .symbol:         _Z6kernelI10flag_headsaLj256ELj8ELb1ELj100EEvPKT0_PS1_.kd
    .uniform_work_group_size: 1
    .uses_dynamic_stack: false
    .vgpr_count:     17
    .vgpr_spill_count: 0
    .wavefront_size: 64
  - .agpr_count:     0
    .args:
      - .address_space:  global
        .offset:         0
        .size:           8
        .value_kind:     global_buffer
      - .address_space:  global
        .offset:         8
        .size:           8
        .value_kind:     global_buffer
    .group_segment_fixed_size: 512
    .kernarg_segment_align: 8
    .kernarg_segment_size: 16
    .language:       OpenCL C
    .language_version:
      - 2
      - 0
    .max_flat_workgroup_size: 256
    .name:           _Z6kernelI10flag_headshLj256ELj1ELb0ELj100EEvPKT0_PS1_
    .private_segment_fixed_size: 0
    .sgpr_count:     14
    .sgpr_spill_count: 0
    .symbol:         _Z6kernelI10flag_headshLj256ELj1ELb0ELj100EEvPKT0_PS1_.kd
    .uniform_work_group_size: 1
    .uses_dynamic_stack: false
    .vgpr_count:     5
    .vgpr_spill_count: 0
    .wavefront_size: 64
  - .agpr_count:     0
    .args:
      - .address_space:  global
        .offset:         0
        .size:           8
        .value_kind:     global_buffer
      - .address_space:  global
        .offset:         8
        .size:           8
        .value_kind:     global_buffer
    .group_segment_fixed_size: 512
    .kernarg_segment_align: 8
    .kernarg_segment_size: 16
    .language:       OpenCL C
    .language_version:
      - 2
      - 0
    .max_flat_workgroup_size: 256
    .name:           _Z6kernelI10flag_headshLj256ELj2ELb0ELj100EEvPKT0_PS1_
    .private_segment_fixed_size: 0
    .sgpr_count:     14
    .sgpr_spill_count: 0
    .symbol:         _Z6kernelI10flag_headshLj256ELj2ELb0ELj100EEvPKT0_PS1_.kd
    .uniform_work_group_size: 1
    .uses_dynamic_stack: false
    .vgpr_count:     7
    .vgpr_spill_count: 0
    .wavefront_size: 64
  - .agpr_count:     0
    .args:
      - .address_space:  global
        .offset:         0
        .size:           8
        .value_kind:     global_buffer
      - .address_space:  global
        .offset:         8
        .size:           8
        .value_kind:     global_buffer
    .group_segment_fixed_size: 512
    .kernarg_segment_align: 8
    .kernarg_segment_size: 16
    .language:       OpenCL C
    .language_version:
      - 2
      - 0
    .max_flat_workgroup_size: 256
    .name:           _Z6kernelI10flag_headshLj256ELj3ELb0ELj100EEvPKT0_PS1_
    .private_segment_fixed_size: 0
    .sgpr_count:     16
    .sgpr_spill_count: 0
    .symbol:         _Z6kernelI10flag_headshLj256ELj3ELb0ELj100EEvPKT0_PS1_.kd
    .uniform_work_group_size: 1
    .uses_dynamic_stack: false
    .vgpr_count:     10
    .vgpr_spill_count: 0
    .wavefront_size: 64
  - .agpr_count:     0
    .args:
      - .address_space:  global
        .offset:         0
        .size:           8
        .value_kind:     global_buffer
      - .address_space:  global
        .offset:         8
        .size:           8
        .value_kind:     global_buffer
    .group_segment_fixed_size: 512
    .kernarg_segment_align: 8
    .kernarg_segment_size: 16
    .language:       OpenCL C
    .language_version:
      - 2
      - 0
    .max_flat_workgroup_size: 256
    .name:           _Z6kernelI10flag_headshLj256ELj4ELb0ELj100EEvPKT0_PS1_
    .private_segment_fixed_size: 0
    .sgpr_count:     16
    .sgpr_spill_count: 0
    .symbol:         _Z6kernelI10flag_headshLj256ELj4ELb0ELj100EEvPKT0_PS1_.kd
    .uniform_work_group_size: 1
    .uses_dynamic_stack: false
    .vgpr_count:     10
    .vgpr_spill_count: 0
    .wavefront_size: 64
  - .agpr_count:     0
    .args:
      - .address_space:  global
        .offset:         0
        .size:           8
        .value_kind:     global_buffer
      - .address_space:  global
        .offset:         8
        .size:           8
        .value_kind:     global_buffer
    .group_segment_fixed_size: 512
    .kernarg_segment_align: 8
    .kernarg_segment_size: 16
    .language:       OpenCL C
    .language_version:
      - 2
      - 0
    .max_flat_workgroup_size: 256
    .name:           _Z6kernelI10flag_headshLj256ELj8ELb0ELj100EEvPKT0_PS1_
    .private_segment_fixed_size: 0
    .sgpr_count:     16
    .sgpr_spill_count: 0
    .symbol:         _Z6kernelI10flag_headshLj256ELj8ELb0ELj100EEvPKT0_PS1_.kd
    .uniform_work_group_size: 1
    .uses_dynamic_stack: false
    .vgpr_count:     17
    .vgpr_spill_count: 0
    .wavefront_size: 64
  - .agpr_count:     0
    .args:
      - .address_space:  global
        .offset:         0
        .size:           8
        .value_kind:     global_buffer
      - .address_space:  global
        .offset:         8
        .size:           8
        .value_kind:     global_buffer
    .group_segment_fixed_size: 512
    .kernarg_segment_align: 8
    .kernarg_segment_size: 16
    .language:       OpenCL C
    .language_version:
      - 2
      - 0
    .max_flat_workgroup_size: 256
    .name:           _Z6kernelI10flag_headshLj256ELj1ELb1ELj100EEvPKT0_PS1_
    .private_segment_fixed_size: 0
    .sgpr_count:     14
    .sgpr_spill_count: 0
    .symbol:         _Z6kernelI10flag_headshLj256ELj1ELb1ELj100EEvPKT0_PS1_.kd
    .uniform_work_group_size: 1
    .uses_dynamic_stack: false
    .vgpr_count:     5
    .vgpr_spill_count: 0
    .wavefront_size: 64
  - .agpr_count:     0
    .args:
      - .address_space:  global
        .offset:         0
        .size:           8
        .value_kind:     global_buffer
      - .address_space:  global
        .offset:         8
        .size:           8
        .value_kind:     global_buffer
    .group_segment_fixed_size: 512
    .kernarg_segment_align: 8
    .kernarg_segment_size: 16
    .language:       OpenCL C
    .language_version:
      - 2
      - 0
    .max_flat_workgroup_size: 256
    .name:           _Z6kernelI10flag_headshLj256ELj2ELb1ELj100EEvPKT0_PS1_
    .private_segment_fixed_size: 0
    .sgpr_count:     14
    .sgpr_spill_count: 0
    .symbol:         _Z6kernelI10flag_headshLj256ELj2ELb1ELj100EEvPKT0_PS1_.kd
    .uniform_work_group_size: 1
    .uses_dynamic_stack: false
    .vgpr_count:     7
    .vgpr_spill_count: 0
    .wavefront_size: 64
  - .agpr_count:     0
    .args:
      - .address_space:  global
        .offset:         0
        .size:           8
        .value_kind:     global_buffer
      - .address_space:  global
        .offset:         8
        .size:           8
        .value_kind:     global_buffer
    .group_segment_fixed_size: 512
    .kernarg_segment_align: 8
    .kernarg_segment_size: 16
    .language:       OpenCL C
    .language_version:
      - 2
      - 0
    .max_flat_workgroup_size: 256
    .name:           _Z6kernelI10flag_headshLj256ELj3ELb1ELj100EEvPKT0_PS1_
    .private_segment_fixed_size: 0
    .sgpr_count:     14
    .sgpr_spill_count: 0
    .symbol:         _Z6kernelI10flag_headshLj256ELj3ELb1ELj100EEvPKT0_PS1_.kd
    .uniform_work_group_size: 1
    .uses_dynamic_stack: false
    .vgpr_count:     9
    .vgpr_spill_count: 0
    .wavefront_size: 64
  - .agpr_count:     0
    .args:
      - .address_space:  global
        .offset:         0
        .size:           8
        .value_kind:     global_buffer
      - .address_space:  global
        .offset:         8
        .size:           8
        .value_kind:     global_buffer
    .group_segment_fixed_size: 512
    .kernarg_segment_align: 8
    .kernarg_segment_size: 16
    .language:       OpenCL C
    .language_version:
      - 2
      - 0
    .max_flat_workgroup_size: 256
    .name:           _Z6kernelI10flag_headshLj256ELj4ELb1ELj100EEvPKT0_PS1_
    .private_segment_fixed_size: 0
    .sgpr_count:     14
    .sgpr_spill_count: 0
    .symbol:         _Z6kernelI10flag_headshLj256ELj4ELb1ELj100EEvPKT0_PS1_.kd
    .uniform_work_group_size: 1
    .uses_dynamic_stack: false
    .vgpr_count:     10
    .vgpr_spill_count: 0
    .wavefront_size: 64
  - .agpr_count:     0
    .args:
      - .address_space:  global
        .offset:         0
        .size:           8
        .value_kind:     global_buffer
      - .address_space:  global
        .offset:         8
        .size:           8
        .value_kind:     global_buffer
    .group_segment_fixed_size: 512
    .kernarg_segment_align: 8
    .kernarg_segment_size: 16
    .language:       OpenCL C
    .language_version:
      - 2
      - 0
    .max_flat_workgroup_size: 256
    .name:           _Z6kernelI10flag_headshLj256ELj8ELb1ELj100EEvPKT0_PS1_
    .private_segment_fixed_size: 0
    .sgpr_count:     14
    .sgpr_spill_count: 0
    .symbol:         _Z6kernelI10flag_headshLj256ELj8ELb1ELj100EEvPKT0_PS1_.kd
    .uniform_work_group_size: 1
    .uses_dynamic_stack: false
    .vgpr_count:     17
    .vgpr_spill_count: 0
    .wavefront_size: 64
  - .agpr_count:     0
    .args:
      - .address_space:  global
        .offset:         0
        .size:           8
        .value_kind:     global_buffer
      - .address_space:  global
        .offset:         8
        .size:           8
        .value_kind:     global_buffer
    .group_segment_fixed_size: 4096
    .kernarg_segment_align: 8
    .kernarg_segment_size: 16
    .language:       OpenCL C
    .language_version:
      - 2
      - 0
    .max_flat_workgroup_size: 256
    .name:           _Z6kernelI10flag_headsxLj256ELj1ELb0ELj100EEvPKT0_PS1_
    .private_segment_fixed_size: 0
    .sgpr_count:     16
    .sgpr_spill_count: 0
    .symbol:         _Z6kernelI10flag_headsxLj256ELj1ELb0ELj100EEvPKT0_PS1_.kd
    .uniform_work_group_size: 1
    .uses_dynamic_stack: false
    .vgpr_count:     7
    .vgpr_spill_count: 0
    .wavefront_size: 64
  - .agpr_count:     0
    .args:
      - .address_space:  global
        .offset:         0
        .size:           8
        .value_kind:     global_buffer
      - .address_space:  global
        .offset:         8
        .size:           8
        .value_kind:     global_buffer
    .group_segment_fixed_size: 4096
    .kernarg_segment_align: 8
    .kernarg_segment_size: 16
    .language:       OpenCL C
    .language_version:
      - 2
      - 0
    .max_flat_workgroup_size: 256
    .name:           _Z6kernelI10flag_headsxLj256ELj2ELb0ELj100EEvPKT0_PS1_
    .private_segment_fixed_size: 0
    .sgpr_count:     15
    .sgpr_spill_count: 0
    .symbol:         _Z6kernelI10flag_headsxLj256ELj2ELb0ELj100EEvPKT0_PS1_.kd
    .uniform_work_group_size: 1
    .uses_dynamic_stack: false
    .vgpr_count:     12
    .vgpr_spill_count: 0
    .wavefront_size: 64
  - .agpr_count:     0
    .args:
      - .address_space:  global
        .offset:         0
        .size:           8
        .value_kind:     global_buffer
      - .address_space:  global
        .offset:         8
        .size:           8
        .value_kind:     global_buffer
    .group_segment_fixed_size: 4096
    .kernarg_segment_align: 8
    .kernarg_segment_size: 16
    .language:       OpenCL C
    .language_version:
      - 2
      - 0
    .max_flat_workgroup_size: 256
    .name:           _Z6kernelI10flag_headsxLj256ELj3ELb0ELj100EEvPKT0_PS1_
    .private_segment_fixed_size: 0
    .sgpr_count:     16
    .sgpr_spill_count: 0
    .symbol:         _Z6kernelI10flag_headsxLj256ELj3ELb0ELj100EEvPKT0_PS1_.kd
    .uniform_work_group_size: 1
    .uses_dynamic_stack: false
    .vgpr_count:     16
    .vgpr_spill_count: 0
    .wavefront_size: 64
  - .agpr_count:     0
    .args:
      - .address_space:  global
        .offset:         0
        .size:           8
        .value_kind:     global_buffer
      - .address_space:  global
        .offset:         8
        .size:           8
        .value_kind:     global_buffer
    .group_segment_fixed_size: 4096
    .kernarg_segment_align: 8
    .kernarg_segment_size: 16
    .language:       OpenCL C
    .language_version:
      - 2
      - 0
    .max_flat_workgroup_size: 256
    .name:           _Z6kernelI10flag_headsxLj256ELj4ELb0ELj100EEvPKT0_PS1_
    .private_segment_fixed_size: 0
    .sgpr_count:     16
    .sgpr_spill_count: 0
    .symbol:         _Z6kernelI10flag_headsxLj256ELj4ELb0ELj100EEvPKT0_PS1_.kd
    .uniform_work_group_size: 1
    .uses_dynamic_stack: false
    .vgpr_count:     16
    .vgpr_spill_count: 0
    .wavefront_size: 64
  - .agpr_count:     0
    .args:
      - .address_space:  global
        .offset:         0
        .size:           8
        .value_kind:     global_buffer
      - .address_space:  global
        .offset:         8
        .size:           8
        .value_kind:     global_buffer
    .group_segment_fixed_size: 4096
    .kernarg_segment_align: 8
    .kernarg_segment_size: 16
    .language:       OpenCL C
    .language_version:
      - 2
      - 0
    .max_flat_workgroup_size: 256
    .name:           _Z6kernelI10flag_headsxLj256ELj8ELb0ELj100EEvPKT0_PS1_
    .private_segment_fixed_size: 0
    .sgpr_count:     16
    .sgpr_spill_count: 0
    .symbol:         _Z6kernelI10flag_headsxLj256ELj8ELb0ELj100EEvPKT0_PS1_.kd
    .uniform_work_group_size: 1
    .uses_dynamic_stack: false
    .vgpr_count:     28
    .vgpr_spill_count: 0
    .wavefront_size: 64
  - .agpr_count:     0
    .args:
      - .address_space:  global
        .offset:         0
        .size:           8
        .value_kind:     global_buffer
      - .address_space:  global
        .offset:         8
        .size:           8
        .value_kind:     global_buffer
    .group_segment_fixed_size: 4096
    .kernarg_segment_align: 8
    .kernarg_segment_size: 16
    .language:       OpenCL C
    .language_version:
      - 2
      - 0
    .max_flat_workgroup_size: 256
    .name:           _Z6kernelI10flag_headsxLj256ELj1ELb1ELj100EEvPKT0_PS1_
    .private_segment_fixed_size: 0
    .sgpr_count:     16
    .sgpr_spill_count: 0
    .symbol:         _Z6kernelI10flag_headsxLj256ELj1ELb1ELj100EEvPKT0_PS1_.kd
    .uniform_work_group_size: 1
    .uses_dynamic_stack: false
    .vgpr_count:     7
    .vgpr_spill_count: 0
    .wavefront_size: 64
  - .agpr_count:     0
    .args:
      - .address_space:  global
        .offset:         0
        .size:           8
        .value_kind:     global_buffer
      - .address_space:  global
        .offset:         8
        .size:           8
        .value_kind:     global_buffer
    .group_segment_fixed_size: 4096
    .kernarg_segment_align: 8
    .kernarg_segment_size: 16
    .language:       OpenCL C
    .language_version:
      - 2
      - 0
    .max_flat_workgroup_size: 256
    .name:           _Z6kernelI10flag_headsxLj256ELj2ELb1ELj100EEvPKT0_PS1_
    .private_segment_fixed_size: 0
    .sgpr_count:     16
    .sgpr_spill_count: 0
    .symbol:         _Z6kernelI10flag_headsxLj256ELj2ELb1ELj100EEvPKT0_PS1_.kd
    .uniform_work_group_size: 1
    .uses_dynamic_stack: false
    .vgpr_count:     9
    .vgpr_spill_count: 0
    .wavefront_size: 64
  - .agpr_count:     0
    .args:
      - .address_space:  global
        .offset:         0
        .size:           8
        .value_kind:     global_buffer
      - .address_space:  global
        .offset:         8
        .size:           8
        .value_kind:     global_buffer
    .group_segment_fixed_size: 4096
    .kernarg_segment_align: 8
    .kernarg_segment_size: 16
    .language:       OpenCL C
    .language_version:
      - 2
      - 0
    .max_flat_workgroup_size: 256
    .name:           _Z6kernelI10flag_headsxLj256ELj3ELb1ELj100EEvPKT0_PS1_
    .private_segment_fixed_size: 0
    .sgpr_count:     16
    .sgpr_spill_count: 0
    .symbol:         _Z6kernelI10flag_headsxLj256ELj3ELb1ELj100EEvPKT0_PS1_.kd
    .uniform_work_group_size: 1
    .uses_dynamic_stack: false
    .vgpr_count:     12
    .vgpr_spill_count: 0
    .wavefront_size: 64
  - .agpr_count:     0
    .args:
      - .address_space:  global
        .offset:         0
        .size:           8
        .value_kind:     global_buffer
      - .address_space:  global
        .offset:         8
        .size:           8
        .value_kind:     global_buffer
    .group_segment_fixed_size: 4096
    .kernarg_segment_align: 8
    .kernarg_segment_size: 16
    .language:       OpenCL C
    .language_version:
      - 2
      - 0
    .max_flat_workgroup_size: 256
    .name:           _Z6kernelI10flag_headsxLj256ELj4ELb1ELj100EEvPKT0_PS1_
    .private_segment_fixed_size: 0
    .sgpr_count:     16
    .sgpr_spill_count: 0
    .symbol:         _Z6kernelI10flag_headsxLj256ELj4ELb1ELj100EEvPKT0_PS1_.kd
    .uniform_work_group_size: 1
    .uses_dynamic_stack: false
    .vgpr_count:     14
    .vgpr_spill_count: 0
    .wavefront_size: 64
  - .agpr_count:     0
    .args:
      - .address_space:  global
        .offset:         0
        .size:           8
        .value_kind:     global_buffer
      - .address_space:  global
        .offset:         8
        .size:           8
        .value_kind:     global_buffer
    .group_segment_fixed_size: 4096
    .kernarg_segment_align: 8
    .kernarg_segment_size: 16
    .language:       OpenCL C
    .language_version:
      - 2
      - 0
    .max_flat_workgroup_size: 256
    .name:           _Z6kernelI10flag_headsxLj256ELj8ELb1ELj100EEvPKT0_PS1_
    .private_segment_fixed_size: 0
    .sgpr_count:     16
    .sgpr_spill_count: 0
    .symbol:         _Z6kernelI10flag_headsxLj256ELj8ELb1ELj100EEvPKT0_PS1_.kd
    .uniform_work_group_size: 1
    .uses_dynamic_stack: false
    .vgpr_count:     24
    .vgpr_spill_count: 0
    .wavefront_size: 64
  - .agpr_count:     0
    .args:
      - .address_space:  global
        .offset:         0
        .size:           8
        .value_kind:     global_buffer
      - .address_space:  global
        .offset:         8
        .size:           8
        .value_kind:     global_buffer
    .group_segment_fixed_size: 2048
    .kernarg_segment_align: 8
    .kernarg_segment_size: 16
    .language:       OpenCL C
    .language_version:
      - 2
      - 0
    .max_flat_workgroup_size: 256
    .name:           _Z6kernelI10flag_tailsiLj256ELj1ELb0ELj100EEvPKT0_PS1_
    .private_segment_fixed_size: 0
    .sgpr_count:     15
    .sgpr_spill_count: 0
    .symbol:         _Z6kernelI10flag_tailsiLj256ELj1ELb0ELj100EEvPKT0_PS1_.kd
    .uniform_work_group_size: 1
    .uses_dynamic_stack: false
    .vgpr_count:     5
    .vgpr_spill_count: 0
    .wavefront_size: 64
  - .agpr_count:     0
    .args:
      - .address_space:  global
        .offset:         0
        .size:           8
        .value_kind:     global_buffer
      - .address_space:  global
        .offset:         8
        .size:           8
        .value_kind:     global_buffer
    .group_segment_fixed_size: 2048
    .kernarg_segment_align: 8
    .kernarg_segment_size: 16
    .language:       OpenCL C
    .language_version:
      - 2
      - 0
    .max_flat_workgroup_size: 256
    .name:           _Z6kernelI10flag_tailsiLj256ELj2ELb0ELj100EEvPKT0_PS1_
    .private_segment_fixed_size: 0
    .sgpr_count:     15
    .sgpr_spill_count: 0
    .symbol:         _Z6kernelI10flag_tailsiLj256ELj2ELb0ELj100EEvPKT0_PS1_.kd
    .uniform_work_group_size: 1
    .uses_dynamic_stack: false
    .vgpr_count:     7
    .vgpr_spill_count: 0
    .wavefront_size: 64
  - .agpr_count:     0
    .args:
      - .address_space:  global
        .offset:         0
        .size:           8
        .value_kind:     global_buffer
      - .address_space:  global
        .offset:         8
        .size:           8
        .value_kind:     global_buffer
    .group_segment_fixed_size: 2048
    .kernarg_segment_align: 8
    .kernarg_segment_size: 16
    .language:       OpenCL C
    .language_version:
      - 2
      - 0
    .max_flat_workgroup_size: 256
    .name:           _Z6kernelI10flag_tailsiLj256ELj3ELb0ELj100EEvPKT0_PS1_
    .private_segment_fixed_size: 0
    .sgpr_count:     16
    .sgpr_spill_count: 0
    .symbol:         _Z6kernelI10flag_tailsiLj256ELj3ELb0ELj100EEvPKT0_PS1_.kd
    .uniform_work_group_size: 1
    .uses_dynamic_stack: false
    .vgpr_count:     10
    .vgpr_spill_count: 0
    .wavefront_size: 64
  - .agpr_count:     0
    .args:
      - .address_space:  global
        .offset:         0
        .size:           8
        .value_kind:     global_buffer
      - .address_space:  global
        .offset:         8
        .size:           8
        .value_kind:     global_buffer
    .group_segment_fixed_size: 2048
    .kernarg_segment_align: 8
    .kernarg_segment_size: 16
    .language:       OpenCL C
    .language_version:
      - 2
      - 0
    .max_flat_workgroup_size: 256
    .name:           _Z6kernelI10flag_tailsiLj256ELj4ELb0ELj100EEvPKT0_PS1_
    .private_segment_fixed_size: 0
    .sgpr_count:     18
    .sgpr_spill_count: 0
    .symbol:         _Z6kernelI10flag_tailsiLj256ELj4ELb0ELj100EEvPKT0_PS1_.kd
    .uniform_work_group_size: 1
    .uses_dynamic_stack: false
    .vgpr_count:     10
    .vgpr_spill_count: 0
    .wavefront_size: 64
  - .agpr_count:     0
    .args:
      - .address_space:  global
        .offset:         0
        .size:           8
        .value_kind:     global_buffer
      - .address_space:  global
        .offset:         8
        .size:           8
        .value_kind:     global_buffer
    .group_segment_fixed_size: 2048
    .kernarg_segment_align: 8
    .kernarg_segment_size: 16
    .language:       OpenCL C
    .language_version:
      - 2
      - 0
    .max_flat_workgroup_size: 256
    .name:           _Z6kernelI10flag_tailsiLj256ELj8ELb0ELj100EEvPKT0_PS1_
    .private_segment_fixed_size: 0
    .sgpr_count:     15
    .sgpr_spill_count: 0
    .symbol:         _Z6kernelI10flag_tailsiLj256ELj8ELb0ELj100EEvPKT0_PS1_.kd
    .uniform_work_group_size: 1
    .uses_dynamic_stack: false
    .vgpr_count:     14
    .vgpr_spill_count: 0
    .wavefront_size: 64
  - .agpr_count:     0
    .args:
      - .address_space:  global
        .offset:         0
        .size:           8
        .value_kind:     global_buffer
      - .address_space:  global
        .offset:         8
        .size:           8
        .value_kind:     global_buffer
    .group_segment_fixed_size: 2048
    .kernarg_segment_align: 8
    .kernarg_segment_size: 16
    .language:       OpenCL C
    .language_version:
      - 2
      - 0
    .max_flat_workgroup_size: 256
    .name:           _Z6kernelI10flag_tailsiLj256ELj1ELb1ELj100EEvPKT0_PS1_
    .private_segment_fixed_size: 0
    .sgpr_count:     14
    .sgpr_spill_count: 0
    .symbol:         _Z6kernelI10flag_tailsiLj256ELj1ELb1ELj100EEvPKT0_PS1_.kd
    .uniform_work_group_size: 1
    .uses_dynamic_stack: false
    .vgpr_count:     5
    .vgpr_spill_count: 0
    .wavefront_size: 64
  - .agpr_count:     0
    .args:
      - .address_space:  global
        .offset:         0
        .size:           8
        .value_kind:     global_buffer
      - .address_space:  global
        .offset:         8
        .size:           8
        .value_kind:     global_buffer
    .group_segment_fixed_size: 2048
    .kernarg_segment_align: 8
    .kernarg_segment_size: 16
    .language:       OpenCL C
    .language_version:
      - 2
      - 0
    .max_flat_workgroup_size: 256
    .name:           _Z6kernelI10flag_tailsiLj256ELj2ELb1ELj100EEvPKT0_PS1_
    .private_segment_fixed_size: 0
    .sgpr_count:     14
    .sgpr_spill_count: 0
    .symbol:         _Z6kernelI10flag_tailsiLj256ELj2ELb1ELj100EEvPKT0_PS1_.kd
    .uniform_work_group_size: 1
    .uses_dynamic_stack: false
    .vgpr_count:     6
    .vgpr_spill_count: 0
    .wavefront_size: 64
  - .agpr_count:     0
    .args:
      - .address_space:  global
        .offset:         0
        .size:           8
        .value_kind:     global_buffer
      - .address_space:  global
        .offset:         8
        .size:           8
        .value_kind:     global_buffer
    .group_segment_fixed_size: 2048
    .kernarg_segment_align: 8
    .kernarg_segment_size: 16
    .language:       OpenCL C
    .language_version:
      - 2
      - 0
    .max_flat_workgroup_size: 256
    .name:           _Z6kernelI10flag_tailsiLj256ELj3ELb1ELj100EEvPKT0_PS1_
    .private_segment_fixed_size: 0
    .sgpr_count:     14
    .sgpr_spill_count: 0
    .symbol:         _Z6kernelI10flag_tailsiLj256ELj3ELb1ELj100EEvPKT0_PS1_.kd
    .uniform_work_group_size: 1
    .uses_dynamic_stack: false
    .vgpr_count:     7
    .vgpr_spill_count: 0
    .wavefront_size: 64
  - .agpr_count:     0
    .args:
      - .address_space:  global
        .offset:         0
        .size:           8
        .value_kind:     global_buffer
      - .address_space:  global
        .offset:         8
        .size:           8
        .value_kind:     global_buffer
    .group_segment_fixed_size: 2048
    .kernarg_segment_align: 8
    .kernarg_segment_size: 16
    .language:       OpenCL C
    .language_version:
      - 2
      - 0
    .max_flat_workgroup_size: 256
    .name:           _Z6kernelI10flag_tailsiLj256ELj4ELb1ELj100EEvPKT0_PS1_
    .private_segment_fixed_size: 0
    .sgpr_count:     14
    .sgpr_spill_count: 0
    .symbol:         _Z6kernelI10flag_tailsiLj256ELj4ELb1ELj100EEvPKT0_PS1_.kd
    .uniform_work_group_size: 1
    .uses_dynamic_stack: false
    .vgpr_count:     8
    .vgpr_spill_count: 0
    .wavefront_size: 64
  - .agpr_count:     0
    .args:
      - .address_space:  global
        .offset:         0
        .size:           8
        .value_kind:     global_buffer
      - .address_space:  global
        .offset:         8
        .size:           8
        .value_kind:     global_buffer
    .group_segment_fixed_size: 2048
    .kernarg_segment_align: 8
    .kernarg_segment_size: 16
    .language:       OpenCL C
    .language_version:
      - 2
      - 0
    .max_flat_workgroup_size: 256
    .name:           _Z6kernelI10flag_tailsiLj256ELj8ELb1ELj100EEvPKT0_PS1_
    .private_segment_fixed_size: 0
    .sgpr_count:     14
    .sgpr_spill_count: 0
    .symbol:         _Z6kernelI10flag_tailsiLj256ELj8ELb1ELj100EEvPKT0_PS1_.kd
    .uniform_work_group_size: 1
    .uses_dynamic_stack: false
    .vgpr_count:     14
    .vgpr_spill_count: 0
    .wavefront_size: 64
  - .agpr_count:     0
    .args:
      - .address_space:  global
        .offset:         0
        .size:           8
        .value_kind:     global_buffer
      - .address_space:  global
        .offset:         8
        .size:           8
        .value_kind:     global_buffer
    .group_segment_fixed_size: 512
    .kernarg_segment_align: 8
    .kernarg_segment_size: 16
    .language:       OpenCL C
    .language_version:
      - 2
      - 0
    .max_flat_workgroup_size: 256
    .name:           _Z6kernelI10flag_tailsaLj256ELj1ELb0ELj100EEvPKT0_PS1_
    .private_segment_fixed_size: 0
    .sgpr_count:     14
    .sgpr_spill_count: 0
    .symbol:         _Z6kernelI10flag_tailsaLj256ELj1ELb0ELj100EEvPKT0_PS1_.kd
    .uniform_work_group_size: 1
    .uses_dynamic_stack: false
    .vgpr_count:     4
    .vgpr_spill_count: 0
    .wavefront_size: 64
  - .agpr_count:     0
    .args:
      - .address_space:  global
        .offset:         0
        .size:           8
        .value_kind:     global_buffer
      - .address_space:  global
        .offset:         8
        .size:           8
        .value_kind:     global_buffer
    .group_segment_fixed_size: 512
    .kernarg_segment_align: 8
    .kernarg_segment_size: 16
    .language:       OpenCL C
    .language_version:
      - 2
      - 0
    .max_flat_workgroup_size: 256
    .name:           _Z6kernelI10flag_tailsaLj256ELj2ELb0ELj100EEvPKT0_PS1_
    .private_segment_fixed_size: 0
    .sgpr_count:     14
    .sgpr_spill_count: 0
    .symbol:         _Z6kernelI10flag_tailsaLj256ELj2ELb0ELj100EEvPKT0_PS1_.kd
    .uniform_work_group_size: 1
    .uses_dynamic_stack: false
    .vgpr_count:     5
    .vgpr_spill_count: 0
    .wavefront_size: 64
  - .agpr_count:     0
    .args:
      - .address_space:  global
        .offset:         0
        .size:           8
        .value_kind:     global_buffer
      - .address_space:  global
        .offset:         8
        .size:           8
        .value_kind:     global_buffer
    .group_segment_fixed_size: 512
    .kernarg_segment_align: 8
    .kernarg_segment_size: 16
    .language:       OpenCL C
    .language_version:
      - 2
      - 0
    .max_flat_workgroup_size: 256
    .name:           _Z6kernelI10flag_tailsaLj256ELj3ELb0ELj100EEvPKT0_PS1_
    .private_segment_fixed_size: 0
    .sgpr_count:     16
    .sgpr_spill_count: 0
    .symbol:         _Z6kernelI10flag_tailsaLj256ELj3ELb0ELj100EEvPKT0_PS1_.kd
    .uniform_work_group_size: 1
    .uses_dynamic_stack: false
    .vgpr_count:     9
    .vgpr_spill_count: 0
    .wavefront_size: 64
  - .agpr_count:     0
    .args:
      - .address_space:  global
        .offset:         0
        .size:           8
        .value_kind:     global_buffer
      - .address_space:  global
        .offset:         8
        .size:           8
        .value_kind:     global_buffer
    .group_segment_fixed_size: 512
    .kernarg_segment_align: 8
    .kernarg_segment_size: 16
    .language:       OpenCL C
    .language_version:
      - 2
      - 0
    .max_flat_workgroup_size: 256
    .name:           _Z6kernelI10flag_tailsaLj256ELj4ELb0ELj100EEvPKT0_PS1_
    .private_segment_fixed_size: 0
    .sgpr_count:     18
    .sgpr_spill_count: 0
    .symbol:         _Z6kernelI10flag_tailsaLj256ELj4ELb0ELj100EEvPKT0_PS1_.kd
    .uniform_work_group_size: 1
    .uses_dynamic_stack: false
    .vgpr_count:     8
    .vgpr_spill_count: 0
    .wavefront_size: 64
  - .agpr_count:     0
    .args:
      - .address_space:  global
        .offset:         0
        .size:           8
        .value_kind:     global_buffer
      - .address_space:  global
        .offset:         8
        .size:           8
        .value_kind:     global_buffer
    .group_segment_fixed_size: 512
    .kernarg_segment_align: 8
    .kernarg_segment_size: 16
    .language:       OpenCL C
    .language_version:
      - 2
      - 0
    .max_flat_workgroup_size: 256
    .name:           _Z6kernelI10flag_tailsaLj256ELj8ELb0ELj100EEvPKT0_PS1_
    .private_segment_fixed_size: 0
    .sgpr_count:     18
    .sgpr_spill_count: 0
    .symbol:         _Z6kernelI10flag_tailsaLj256ELj8ELb0ELj100EEvPKT0_PS1_.kd
    .uniform_work_group_size: 1
    .uses_dynamic_stack: false
    .vgpr_count:     15
    .vgpr_spill_count: 0
    .wavefront_size: 64
  - .agpr_count:     0
    .args:
      - .address_space:  global
        .offset:         0
        .size:           8
        .value_kind:     global_buffer
      - .address_space:  global
        .offset:         8
        .size:           8
        .value_kind:     global_buffer
    .group_segment_fixed_size: 512
    .kernarg_segment_align: 8
    .kernarg_segment_size: 16
    .language:       OpenCL C
    .language_version:
      - 2
      - 0
    .max_flat_workgroup_size: 256
    .name:           _Z6kernelI10flag_tailsaLj256ELj1ELb1ELj100EEvPKT0_PS1_
    .private_segment_fixed_size: 0
    .sgpr_count:     14
    .sgpr_spill_count: 0
    .symbol:         _Z6kernelI10flag_tailsaLj256ELj1ELb1ELj100EEvPKT0_PS1_.kd
    .uniform_work_group_size: 1
    .uses_dynamic_stack: false
    .vgpr_count:     4
    .vgpr_spill_count: 0
    .wavefront_size: 64
  - .agpr_count:     0
    .args:
      - .address_space:  global
        .offset:         0
        .size:           8
        .value_kind:     global_buffer
      - .address_space:  global
        .offset:         8
        .size:           8
        .value_kind:     global_buffer
    .group_segment_fixed_size: 512
    .kernarg_segment_align: 8
    .kernarg_segment_size: 16
    .language:       OpenCL C
    .language_version:
      - 2
      - 0
    .max_flat_workgroup_size: 256
    .name:           _Z6kernelI10flag_tailsaLj256ELj2ELb1ELj100EEvPKT0_PS1_
    .private_segment_fixed_size: 0
    .sgpr_count:     14
    .sgpr_spill_count: 0
    .symbol:         _Z6kernelI10flag_tailsaLj256ELj2ELb1ELj100EEvPKT0_PS1_.kd
    .uniform_work_group_size: 1
    .uses_dynamic_stack: false
    .vgpr_count:     6
    .vgpr_spill_count: 0
    .wavefront_size: 64
  - .agpr_count:     0
    .args:
      - .address_space:  global
        .offset:         0
        .size:           8
        .value_kind:     global_buffer
      - .address_space:  global
        .offset:         8
        .size:           8
        .value_kind:     global_buffer
    .group_segment_fixed_size: 512
    .kernarg_segment_align: 8
    .kernarg_segment_size: 16
    .language:       OpenCL C
    .language_version:
      - 2
      - 0
    .max_flat_workgroup_size: 256
    .name:           _Z6kernelI10flag_tailsaLj256ELj3ELb1ELj100EEvPKT0_PS1_
    .private_segment_fixed_size: 0
    .sgpr_count:     14
    .sgpr_spill_count: 0
    .symbol:         _Z6kernelI10flag_tailsaLj256ELj3ELb1ELj100EEvPKT0_PS1_.kd
    .uniform_work_group_size: 1
    .uses_dynamic_stack: false
    .vgpr_count:     8
    .vgpr_spill_count: 0
    .wavefront_size: 64
  - .agpr_count:     0
    .args:
      - .address_space:  global
        .offset:         0
        .size:           8
        .value_kind:     global_buffer
      - .address_space:  global
        .offset:         8
        .size:           8
        .value_kind:     global_buffer
    .group_segment_fixed_size: 512
    .kernarg_segment_align: 8
    .kernarg_segment_size: 16
    .language:       OpenCL C
    .language_version:
      - 2
      - 0
    .max_flat_workgroup_size: 256
    .name:           _Z6kernelI10flag_tailsaLj256ELj4ELb1ELj100EEvPKT0_PS1_
    .private_segment_fixed_size: 0
    .sgpr_count:     14
    .sgpr_spill_count: 0
    .symbol:         _Z6kernelI10flag_tailsaLj256ELj4ELb1ELj100EEvPKT0_PS1_.kd
    .uniform_work_group_size: 1
    .uses_dynamic_stack: false
    .vgpr_count:     9
    .vgpr_spill_count: 0
    .wavefront_size: 64
  - .agpr_count:     0
    .args:
      - .address_space:  global
        .offset:         0
        .size:           8
        .value_kind:     global_buffer
      - .address_space:  global
        .offset:         8
        .size:           8
        .value_kind:     global_buffer
    .group_segment_fixed_size: 512
    .kernarg_segment_align: 8
    .kernarg_segment_size: 16
    .language:       OpenCL C
    .language_version:
      - 2
      - 0
    .max_flat_workgroup_size: 256
    .name:           _Z6kernelI10flag_tailsaLj256ELj8ELb1ELj100EEvPKT0_PS1_
    .private_segment_fixed_size: 0
    .sgpr_count:     14
    .sgpr_spill_count: 0
    .symbol:         _Z6kernelI10flag_tailsaLj256ELj8ELb1ELj100EEvPKT0_PS1_.kd
    .uniform_work_group_size: 1
    .uses_dynamic_stack: false
    .vgpr_count:     16
    .vgpr_spill_count: 0
    .wavefront_size: 64
  - .agpr_count:     0
    .args:
      - .address_space:  global
        .offset:         0
        .size:           8
        .value_kind:     global_buffer
      - .address_space:  global
        .offset:         8
        .size:           8
        .value_kind:     global_buffer
    .group_segment_fixed_size: 512
    .kernarg_segment_align: 8
    .kernarg_segment_size: 16
    .language:       OpenCL C
    .language_version:
      - 2
      - 0
    .max_flat_workgroup_size: 256
    .name:           _Z6kernelI10flag_tailshLj256ELj1ELb0ELj100EEvPKT0_PS1_
    .private_segment_fixed_size: 0
    .sgpr_count:     14
    .sgpr_spill_count: 0
    .symbol:         _Z6kernelI10flag_tailshLj256ELj1ELb0ELj100EEvPKT0_PS1_.kd
    .uniform_work_group_size: 1
    .uses_dynamic_stack: false
    .vgpr_count:     4
    .vgpr_spill_count: 0
    .wavefront_size: 64
  - .agpr_count:     0
    .args:
      - .address_space:  global
        .offset:         0
        .size:           8
        .value_kind:     global_buffer
      - .address_space:  global
        .offset:         8
        .size:           8
        .value_kind:     global_buffer
    .group_segment_fixed_size: 512
    .kernarg_segment_align: 8
    .kernarg_segment_size: 16
    .language:       OpenCL C
    .language_version:
      - 2
      - 0
    .max_flat_workgroup_size: 256
    .name:           _Z6kernelI10flag_tailshLj256ELj2ELb0ELj100EEvPKT0_PS1_
    .private_segment_fixed_size: 0
    .sgpr_count:     14
    .sgpr_spill_count: 0
    .symbol:         _Z6kernelI10flag_tailshLj256ELj2ELb0ELj100EEvPKT0_PS1_.kd
    .uniform_work_group_size: 1
    .uses_dynamic_stack: false
    .vgpr_count:     5
    .vgpr_spill_count: 0
    .wavefront_size: 64
  - .agpr_count:     0
    .args:
      - .address_space:  global
        .offset:         0
        .size:           8
        .value_kind:     global_buffer
      - .address_space:  global
        .offset:         8
        .size:           8
        .value_kind:     global_buffer
    .group_segment_fixed_size: 512
    .kernarg_segment_align: 8
    .kernarg_segment_size: 16
    .language:       OpenCL C
    .language_version:
      - 2
      - 0
    .max_flat_workgroup_size: 256
    .name:           _Z6kernelI10flag_tailshLj256ELj3ELb0ELj100EEvPKT0_PS1_
    .private_segment_fixed_size: 0
    .sgpr_count:     16
    .sgpr_spill_count: 0
    .symbol:         _Z6kernelI10flag_tailshLj256ELj3ELb0ELj100EEvPKT0_PS1_.kd
    .uniform_work_group_size: 1
    .uses_dynamic_stack: false
    .vgpr_count:     9
    .vgpr_spill_count: 0
    .wavefront_size: 64
  - .agpr_count:     0
    .args:
      - .address_space:  global
        .offset:         0
        .size:           8
        .value_kind:     global_buffer
      - .address_space:  global
        .offset:         8
        .size:           8
        .value_kind:     global_buffer
    .group_segment_fixed_size: 512
    .kernarg_segment_align: 8
    .kernarg_segment_size: 16
    .language:       OpenCL C
    .language_version:
      - 2
      - 0
    .max_flat_workgroup_size: 256
    .name:           _Z6kernelI10flag_tailshLj256ELj4ELb0ELj100EEvPKT0_PS1_
    .private_segment_fixed_size: 0
    .sgpr_count:     18
    .sgpr_spill_count: 0
    .symbol:         _Z6kernelI10flag_tailshLj256ELj4ELb0ELj100EEvPKT0_PS1_.kd
    .uniform_work_group_size: 1
    .uses_dynamic_stack: false
    .vgpr_count:     8
    .vgpr_spill_count: 0
    .wavefront_size: 64
  - .agpr_count:     0
    .args:
      - .address_space:  global
        .offset:         0
        .size:           8
        .value_kind:     global_buffer
      - .address_space:  global
        .offset:         8
        .size:           8
        .value_kind:     global_buffer
    .group_segment_fixed_size: 512
    .kernarg_segment_align: 8
    .kernarg_segment_size: 16
    .language:       OpenCL C
    .language_version:
      - 2
      - 0
    .max_flat_workgroup_size: 256
    .name:           _Z6kernelI10flag_tailshLj256ELj8ELb0ELj100EEvPKT0_PS1_
    .private_segment_fixed_size: 0
    .sgpr_count:     18
    .sgpr_spill_count: 0
    .symbol:         _Z6kernelI10flag_tailshLj256ELj8ELb0ELj100EEvPKT0_PS1_.kd
    .uniform_work_group_size: 1
    .uses_dynamic_stack: false
    .vgpr_count:     15
    .vgpr_spill_count: 0
    .wavefront_size: 64
  - .agpr_count:     0
    .args:
      - .address_space:  global
        .offset:         0
        .size:           8
        .value_kind:     global_buffer
      - .address_space:  global
        .offset:         8
        .size:           8
        .value_kind:     global_buffer
    .group_segment_fixed_size: 512
    .kernarg_segment_align: 8
    .kernarg_segment_size: 16
    .language:       OpenCL C
    .language_version:
      - 2
      - 0
    .max_flat_workgroup_size: 256
    .name:           _Z6kernelI10flag_tailshLj256ELj1ELb1ELj100EEvPKT0_PS1_
    .private_segment_fixed_size: 0
    .sgpr_count:     14
    .sgpr_spill_count: 0
    .symbol:         _Z6kernelI10flag_tailshLj256ELj1ELb1ELj100EEvPKT0_PS1_.kd
    .uniform_work_group_size: 1
    .uses_dynamic_stack: false
    .vgpr_count:     4
    .vgpr_spill_count: 0
    .wavefront_size: 64
  - .agpr_count:     0
    .args:
      - .address_space:  global
        .offset:         0
        .size:           8
        .value_kind:     global_buffer
      - .address_space:  global
        .offset:         8
        .size:           8
        .value_kind:     global_buffer
    .group_segment_fixed_size: 512
    .kernarg_segment_align: 8
    .kernarg_segment_size: 16
    .language:       OpenCL C
    .language_version:
      - 2
      - 0
    .max_flat_workgroup_size: 256
    .name:           _Z6kernelI10flag_tailshLj256ELj2ELb1ELj100EEvPKT0_PS1_
    .private_segment_fixed_size: 0
    .sgpr_count:     14
    .sgpr_spill_count: 0
    .symbol:         _Z6kernelI10flag_tailshLj256ELj2ELb1ELj100EEvPKT0_PS1_.kd
    .uniform_work_group_size: 1
    .uses_dynamic_stack: false
    .vgpr_count:     6
    .vgpr_spill_count: 0
    .wavefront_size: 64
  - .agpr_count:     0
    .args:
      - .address_space:  global
        .offset:         0
        .size:           8
        .value_kind:     global_buffer
      - .address_space:  global
        .offset:         8
        .size:           8
        .value_kind:     global_buffer
    .group_segment_fixed_size: 512
    .kernarg_segment_align: 8
    .kernarg_segment_size: 16
    .language:       OpenCL C
    .language_version:
      - 2
      - 0
    .max_flat_workgroup_size: 256
    .name:           _Z6kernelI10flag_tailshLj256ELj3ELb1ELj100EEvPKT0_PS1_
    .private_segment_fixed_size: 0
    .sgpr_count:     14
    .sgpr_spill_count: 0
    .symbol:         _Z6kernelI10flag_tailshLj256ELj3ELb1ELj100EEvPKT0_PS1_.kd
    .uniform_work_group_size: 1
    .uses_dynamic_stack: false
    .vgpr_count:     8
    .vgpr_spill_count: 0
    .wavefront_size: 64
  - .agpr_count:     0
    .args:
      - .address_space:  global
        .offset:         0
        .size:           8
        .value_kind:     global_buffer
      - .address_space:  global
        .offset:         8
        .size:           8
        .value_kind:     global_buffer
    .group_segment_fixed_size: 512
    .kernarg_segment_align: 8
    .kernarg_segment_size: 16
    .language:       OpenCL C
    .language_version:
      - 2
      - 0
    .max_flat_workgroup_size: 256
    .name:           _Z6kernelI10flag_tailshLj256ELj4ELb1ELj100EEvPKT0_PS1_
    .private_segment_fixed_size: 0
    .sgpr_count:     14
    .sgpr_spill_count: 0
    .symbol:         _Z6kernelI10flag_tailshLj256ELj4ELb1ELj100EEvPKT0_PS1_.kd
    .uniform_work_group_size: 1
    .uses_dynamic_stack: false
    .vgpr_count:     9
    .vgpr_spill_count: 0
    .wavefront_size: 64
  - .agpr_count:     0
    .args:
      - .address_space:  global
        .offset:         0
        .size:           8
        .value_kind:     global_buffer
      - .address_space:  global
        .offset:         8
        .size:           8
        .value_kind:     global_buffer
    .group_segment_fixed_size: 512
    .kernarg_segment_align: 8
    .kernarg_segment_size: 16
    .language:       OpenCL C
    .language_version:
      - 2
      - 0
    .max_flat_workgroup_size: 256
    .name:           _Z6kernelI10flag_tailshLj256ELj8ELb1ELj100EEvPKT0_PS1_
    .private_segment_fixed_size: 0
    .sgpr_count:     14
    .sgpr_spill_count: 0
    .symbol:         _Z6kernelI10flag_tailshLj256ELj8ELb1ELj100EEvPKT0_PS1_.kd
    .uniform_work_group_size: 1
    .uses_dynamic_stack: false
    .vgpr_count:     16
    .vgpr_spill_count: 0
    .wavefront_size: 64
  - .agpr_count:     0
    .args:
      - .address_space:  global
        .offset:         0
        .size:           8
        .value_kind:     global_buffer
      - .address_space:  global
        .offset:         8
        .size:           8
        .value_kind:     global_buffer
    .group_segment_fixed_size: 4096
    .kernarg_segment_align: 8
    .kernarg_segment_size: 16
    .language:       OpenCL C
    .language_version:
      - 2
      - 0
    .max_flat_workgroup_size: 256
    .name:           _Z6kernelI10flag_tailsxLj256ELj1ELb0ELj100EEvPKT0_PS1_
    .private_segment_fixed_size: 0
    .sgpr_count:     16
    .sgpr_spill_count: 0
    .symbol:         _Z6kernelI10flag_tailsxLj256ELj1ELb0ELj100EEvPKT0_PS1_.kd
    .uniform_work_group_size: 1
    .uses_dynamic_stack: false
    .vgpr_count:     7
    .vgpr_spill_count: 0
    .wavefront_size: 64
  - .agpr_count:     0
    .args:
      - .address_space:  global
        .offset:         0
        .size:           8
        .value_kind:     global_buffer
      - .address_space:  global
        .offset:         8
        .size:           8
        .value_kind:     global_buffer
    .group_segment_fixed_size: 4096
    .kernarg_segment_align: 8
    .kernarg_segment_size: 16
    .language:       OpenCL C
    .language_version:
      - 2
      - 0
    .max_flat_workgroup_size: 256
    .name:           _Z6kernelI10flag_tailsxLj256ELj2ELb0ELj100EEvPKT0_PS1_
    .private_segment_fixed_size: 0
    .sgpr_count:     15
    .sgpr_spill_count: 0
    .symbol:         _Z6kernelI10flag_tailsxLj256ELj2ELb0ELj100EEvPKT0_PS1_.kd
    .uniform_work_group_size: 1
    .uses_dynamic_stack: false
    .vgpr_count:     12
    .vgpr_spill_count: 0
    .wavefront_size: 64
  - .agpr_count:     0
    .args:
      - .address_space:  global
        .offset:         0
        .size:           8
        .value_kind:     global_buffer
      - .address_space:  global
        .offset:         8
        .size:           8
        .value_kind:     global_buffer
    .group_segment_fixed_size: 4096
    .kernarg_segment_align: 8
    .kernarg_segment_size: 16
    .language:       OpenCL C
    .language_version:
      - 2
      - 0
    .max_flat_workgroup_size: 256
    .name:           _Z6kernelI10flag_tailsxLj256ELj3ELb0ELj100EEvPKT0_PS1_
    .private_segment_fixed_size: 0
    .sgpr_count:     16
    .sgpr_spill_count: 0
    .symbol:         _Z6kernelI10flag_tailsxLj256ELj3ELb0ELj100EEvPKT0_PS1_.kd
    .uniform_work_group_size: 1
    .uses_dynamic_stack: false
    .vgpr_count:     16
    .vgpr_spill_count: 0
    .wavefront_size: 64
  - .agpr_count:     0
    .args:
      - .address_space:  global
        .offset:         0
        .size:           8
        .value_kind:     global_buffer
      - .address_space:  global
        .offset:         8
        .size:           8
        .value_kind:     global_buffer
    .group_segment_fixed_size: 4096
    .kernarg_segment_align: 8
    .kernarg_segment_size: 16
    .language:       OpenCL C
    .language_version:
      - 2
      - 0
    .max_flat_workgroup_size: 256
    .name:           _Z6kernelI10flag_tailsxLj256ELj4ELb0ELj100EEvPKT0_PS1_
    .private_segment_fixed_size: 0
    .sgpr_count:     16
    .sgpr_spill_count: 0
    .symbol:         _Z6kernelI10flag_tailsxLj256ELj4ELb0ELj100EEvPKT0_PS1_.kd
    .uniform_work_group_size: 1
    .uses_dynamic_stack: false
    .vgpr_count:     16
    .vgpr_spill_count: 0
    .wavefront_size: 64
  - .agpr_count:     0
    .args:
      - .address_space:  global
        .offset:         0
        .size:           8
        .value_kind:     global_buffer
      - .address_space:  global
        .offset:         8
        .size:           8
        .value_kind:     global_buffer
    .group_segment_fixed_size: 4096
    .kernarg_segment_align: 8
    .kernarg_segment_size: 16
    .language:       OpenCL C
    .language_version:
      - 2
      - 0
    .max_flat_workgroup_size: 256
    .name:           _Z6kernelI10flag_tailsxLj256ELj8ELb0ELj100EEvPKT0_PS1_
    .private_segment_fixed_size: 0
    .sgpr_count:     18
    .sgpr_spill_count: 0
    .symbol:         _Z6kernelI10flag_tailsxLj256ELj8ELb0ELj100EEvPKT0_PS1_.kd
    .uniform_work_group_size: 1
    .uses_dynamic_stack: false
    .vgpr_count:     28
    .vgpr_spill_count: 0
    .wavefront_size: 64
  - .agpr_count:     0
    .args:
      - .address_space:  global
        .offset:         0
        .size:           8
        .value_kind:     global_buffer
      - .address_space:  global
        .offset:         8
        .size:           8
        .value_kind:     global_buffer
    .group_segment_fixed_size: 4096
    .kernarg_segment_align: 8
    .kernarg_segment_size: 16
    .language:       OpenCL C
    .language_version:
      - 2
      - 0
    .max_flat_workgroup_size: 256
    .name:           _Z6kernelI10flag_tailsxLj256ELj1ELb1ELj100EEvPKT0_PS1_
    .private_segment_fixed_size: 0
    .sgpr_count:     16
    .sgpr_spill_count: 0
    .symbol:         _Z6kernelI10flag_tailsxLj256ELj1ELb1ELj100EEvPKT0_PS1_.kd
    .uniform_work_group_size: 1
    .uses_dynamic_stack: false
    .vgpr_count:     7
    .vgpr_spill_count: 0
    .wavefront_size: 64
  - .agpr_count:     0
    .args:
      - .address_space:  global
        .offset:         0
        .size:           8
        .value_kind:     global_buffer
      - .address_space:  global
        .offset:         8
        .size:           8
        .value_kind:     global_buffer
    .group_segment_fixed_size: 4096
    .kernarg_segment_align: 8
    .kernarg_segment_size: 16
    .language:       OpenCL C
    .language_version:
      - 2
      - 0
    .max_flat_workgroup_size: 256
    .name:           _Z6kernelI10flag_tailsxLj256ELj2ELb1ELj100EEvPKT0_PS1_
    .private_segment_fixed_size: 0
    .sgpr_count:     16
    .sgpr_spill_count: 0
    .symbol:         _Z6kernelI10flag_tailsxLj256ELj2ELb1ELj100EEvPKT0_PS1_.kd
    .uniform_work_group_size: 1
    .uses_dynamic_stack: false
    .vgpr_count:     12
    .vgpr_spill_count: 0
    .wavefront_size: 64
  - .agpr_count:     0
    .args:
      - .address_space:  global
        .offset:         0
        .size:           8
        .value_kind:     global_buffer
      - .address_space:  global
        .offset:         8
        .size:           8
        .value_kind:     global_buffer
    .group_segment_fixed_size: 4096
    .kernarg_segment_align: 8
    .kernarg_segment_size: 16
    .language:       OpenCL C
    .language_version:
      - 2
      - 0
    .max_flat_workgroup_size: 256
    .name:           _Z6kernelI10flag_tailsxLj256ELj3ELb1ELj100EEvPKT0_PS1_
    .private_segment_fixed_size: 0
    .sgpr_count:     16
    .sgpr_spill_count: 0
    .symbol:         _Z6kernelI10flag_tailsxLj256ELj3ELb1ELj100EEvPKT0_PS1_.kd
    .uniform_work_group_size: 1
    .uses_dynamic_stack: false
    .vgpr_count:     14
    .vgpr_spill_count: 0
    .wavefront_size: 64
  - .agpr_count:     0
    .args:
      - .address_space:  global
        .offset:         0
        .size:           8
        .value_kind:     global_buffer
      - .address_space:  global
        .offset:         8
        .size:           8
        .value_kind:     global_buffer
    .group_segment_fixed_size: 4096
    .kernarg_segment_align: 8
    .kernarg_segment_size: 16
    .language:       OpenCL C
    .language_version:
      - 2
      - 0
    .max_flat_workgroup_size: 256
    .name:           _Z6kernelI10flag_tailsxLj256ELj4ELb1ELj100EEvPKT0_PS1_
    .private_segment_fixed_size: 0
    .sgpr_count:     16
    .sgpr_spill_count: 0
    .symbol:         _Z6kernelI10flag_tailsxLj256ELj4ELb1ELj100EEvPKT0_PS1_.kd
    .uniform_work_group_size: 1
    .uses_dynamic_stack: false
    .vgpr_count:     16
    .vgpr_spill_count: 0
    .wavefront_size: 64
  - .agpr_count:     0
    .args:
      - .address_space:  global
        .offset:         0
        .size:           8
        .value_kind:     global_buffer
      - .address_space:  global
        .offset:         8
        .size:           8
        .value_kind:     global_buffer
    .group_segment_fixed_size: 4096
    .kernarg_segment_align: 8
    .kernarg_segment_size: 16
    .language:       OpenCL C
    .language_version:
      - 2
      - 0
    .max_flat_workgroup_size: 256
    .name:           _Z6kernelI10flag_tailsxLj256ELj8ELb1ELj100EEvPKT0_PS1_
    .private_segment_fixed_size: 0
    .sgpr_count:     16
    .sgpr_spill_count: 0
    .symbol:         _Z6kernelI10flag_tailsxLj256ELj8ELb1ELj100EEvPKT0_PS1_.kd
    .uniform_work_group_size: 1
    .uses_dynamic_stack: false
    .vgpr_count:     24
    .vgpr_spill_count: 0
    .wavefront_size: 64
  - .agpr_count:     0
    .args:
      - .address_space:  global
        .offset:         0
        .size:           8
        .value_kind:     global_buffer
      - .address_space:  global
        .offset:         8
        .size:           8
        .value_kind:     global_buffer
    .group_segment_fixed_size: 2048
    .kernarg_segment_align: 8
    .kernarg_segment_size: 16
    .language:       OpenCL C
    .language_version:
      - 2
      - 0
    .max_flat_workgroup_size: 256
    .name:           _Z6kernelI20flag_heads_and_tailsiLj256ELj1ELb0ELj100EEvPKT0_PS1_
    .private_segment_fixed_size: 0
    .sgpr_count:     17
    .sgpr_spill_count: 0
    .symbol:         _Z6kernelI20flag_heads_and_tailsiLj256ELj1ELb0ELj100EEvPKT0_PS1_.kd
    .uniform_work_group_size: 1
    .uses_dynamic_stack: false
    .vgpr_count:     7
    .vgpr_spill_count: 0
    .wavefront_size: 64
  - .agpr_count:     0
    .args:
      - .address_space:  global
        .offset:         0
        .size:           8
        .value_kind:     global_buffer
      - .address_space:  global
        .offset:         8
        .size:           8
        .value_kind:     global_buffer
    .group_segment_fixed_size: 2048
    .kernarg_segment_align: 8
    .kernarg_segment_size: 16
    .language:       OpenCL C
    .language_version:
      - 2
      - 0
    .max_flat_workgroup_size: 256
    .name:           _Z6kernelI20flag_heads_and_tailsiLj256ELj2ELb0ELj100EEvPKT0_PS1_
    .private_segment_fixed_size: 0
    .sgpr_count:     17
    .sgpr_spill_count: 0
    .symbol:         _Z6kernelI20flag_heads_and_tailsiLj256ELj2ELb0ELj100EEvPKT0_PS1_.kd
    .uniform_work_group_size: 1
    .uses_dynamic_stack: false
    .vgpr_count:     10
    .vgpr_spill_count: 0
    .wavefront_size: 64
  - .agpr_count:     0
    .args:
      - .address_space:  global
        .offset:         0
        .size:           8
        .value_kind:     global_buffer
      - .address_space:  global
        .offset:         8
        .size:           8
        .value_kind:     global_buffer
    .group_segment_fixed_size: 2048
    .kernarg_segment_align: 8
    .kernarg_segment_size: 16
    .language:       OpenCL C
    .language_version:
      - 2
      - 0
    .max_flat_workgroup_size: 256
    .name:           _Z6kernelI20flag_heads_and_tailsiLj256ELj3ELb0ELj100EEvPKT0_PS1_
    .private_segment_fixed_size: 0
    .sgpr_count:     18
    .sgpr_spill_count: 0
    .symbol:         _Z6kernelI20flag_heads_and_tailsiLj256ELj3ELb0ELj100EEvPKT0_PS1_.kd
    .uniform_work_group_size: 1
    .uses_dynamic_stack: false
    .vgpr_count:     14
    .vgpr_spill_count: 0
    .wavefront_size: 64
  - .agpr_count:     0
    .args:
      - .address_space:  global
        .offset:         0
        .size:           8
        .value_kind:     global_buffer
      - .address_space:  global
        .offset:         8
        .size:           8
        .value_kind:     global_buffer
    .group_segment_fixed_size: 2048
    .kernarg_segment_align: 8
    .kernarg_segment_size: 16
    .language:       OpenCL C
    .language_version:
      - 2
      - 0
    .max_flat_workgroup_size: 256
    .name:           _Z6kernelI20flag_heads_and_tailsiLj256ELj4ELb0ELj100EEvPKT0_PS1_
    .private_segment_fixed_size: 0
    .sgpr_count:     21
    .sgpr_spill_count: 0
    .symbol:         _Z6kernelI20flag_heads_and_tailsiLj256ELj4ELb0ELj100EEvPKT0_PS1_.kd
    .uniform_work_group_size: 1
    .uses_dynamic_stack: false
    .vgpr_count:     14
    .vgpr_spill_count: 0
    .wavefront_size: 64
  - .agpr_count:     0
    .args:
      - .address_space:  global
        .offset:         0
        .size:           8
        .value_kind:     global_buffer
      - .address_space:  global
        .offset:         8
        .size:           8
        .value_kind:     global_buffer
    .group_segment_fixed_size: 2048
    .kernarg_segment_align: 8
    .kernarg_segment_size: 16
    .language:       OpenCL C
    .language_version:
      - 2
      - 0
    .max_flat_workgroup_size: 256
    .name:           _Z6kernelI20flag_heads_and_tailsiLj256ELj8ELb0ELj100EEvPKT0_PS1_
    .private_segment_fixed_size: 0
    .sgpr_count:     17
    .sgpr_spill_count: 0
    .symbol:         _Z6kernelI20flag_heads_and_tailsiLj256ELj8ELb0ELj100EEvPKT0_PS1_.kd
    .uniform_work_group_size: 1
    .uses_dynamic_stack: false
    .vgpr_count:     15
    .vgpr_spill_count: 0
    .wavefront_size: 64
  - .agpr_count:     0
    .args:
      - .address_space:  global
        .offset:         0
        .size:           8
        .value_kind:     global_buffer
      - .address_space:  global
        .offset:         8
        .size:           8
        .value_kind:     global_buffer
    .group_segment_fixed_size: 2048
    .kernarg_segment_align: 8
    .kernarg_segment_size: 16
    .language:       OpenCL C
    .language_version:
      - 2
      - 0
    .max_flat_workgroup_size: 256
    .name:           _Z6kernelI20flag_heads_and_tailsiLj256ELj1ELb1ELj100EEvPKT0_PS1_
    .private_segment_fixed_size: 0
    .sgpr_count:     16
    .sgpr_spill_count: 0
    .symbol:         _Z6kernelI20flag_heads_and_tailsiLj256ELj1ELb1ELj100EEvPKT0_PS1_.kd
    .uniform_work_group_size: 1
    .uses_dynamic_stack: false
    .vgpr_count:     7
    .vgpr_spill_count: 0
    .wavefront_size: 64
  - .agpr_count:     0
    .args:
      - .address_space:  global
        .offset:         0
        .size:           8
        .value_kind:     global_buffer
      - .address_space:  global
        .offset:         8
        .size:           8
        .value_kind:     global_buffer
    .group_segment_fixed_size: 2048
    .kernarg_segment_align: 8
    .kernarg_segment_size: 16
    .language:       OpenCL C
    .language_version:
      - 2
      - 0
    .max_flat_workgroup_size: 256
    .name:           _Z6kernelI20flag_heads_and_tailsiLj256ELj2ELb1ELj100EEvPKT0_PS1_
    .private_segment_fixed_size: 0
    .sgpr_count:     16
    .sgpr_spill_count: 0
    .symbol:         _Z6kernelI20flag_heads_and_tailsiLj256ELj2ELb1ELj100EEvPKT0_PS1_.kd
    .uniform_work_group_size: 1
    .uses_dynamic_stack: false
    .vgpr_count:     9
    .vgpr_spill_count: 0
    .wavefront_size: 64
  - .agpr_count:     0
    .args:
      - .address_space:  global
        .offset:         0
        .size:           8
        .value_kind:     global_buffer
      - .address_space:  global
        .offset:         8
        .size:           8
        .value_kind:     global_buffer
    .group_segment_fixed_size: 2048
    .kernarg_segment_align: 8
    .kernarg_segment_size: 16
    .language:       OpenCL C
    .language_version:
      - 2
      - 0
    .max_flat_workgroup_size: 256
    .name:           _Z6kernelI20flag_heads_and_tailsiLj256ELj3ELb1ELj100EEvPKT0_PS1_
    .private_segment_fixed_size: 0
    .sgpr_count:     16
    .sgpr_spill_count: 0
    .symbol:         _Z6kernelI20flag_heads_and_tailsiLj256ELj3ELb1ELj100EEvPKT0_PS1_.kd
    .uniform_work_group_size: 1
    .uses_dynamic_stack: false
    .vgpr_count:     10
    .vgpr_spill_count: 0
    .wavefront_size: 64
  - .agpr_count:     0
    .args:
      - .address_space:  global
        .offset:         0
        .size:           8
        .value_kind:     global_buffer
      - .address_space:  global
        .offset:         8
        .size:           8
        .value_kind:     global_buffer
    .group_segment_fixed_size: 2048
    .kernarg_segment_align: 8
    .kernarg_segment_size: 16
    .language:       OpenCL C
    .language_version:
      - 2
      - 0
    .max_flat_workgroup_size: 256
    .name:           _Z6kernelI20flag_heads_and_tailsiLj256ELj4ELb1ELj100EEvPKT0_PS1_
    .private_segment_fixed_size: 0
    .sgpr_count:     16
    .sgpr_spill_count: 0
    .symbol:         _Z6kernelI20flag_heads_and_tailsiLj256ELj4ELb1ELj100EEvPKT0_PS1_.kd
    .uniform_work_group_size: 1
    .uses_dynamic_stack: false
    .vgpr_count:     11
    .vgpr_spill_count: 0
    .wavefront_size: 64
  - .agpr_count:     0
    .args:
      - .address_space:  global
        .offset:         0
        .size:           8
        .value_kind:     global_buffer
      - .address_space:  global
        .offset:         8
        .size:           8
        .value_kind:     global_buffer
    .group_segment_fixed_size: 2048
    .kernarg_segment_align: 8
    .kernarg_segment_size: 16
    .language:       OpenCL C
    .language_version:
      - 2
      - 0
    .max_flat_workgroup_size: 256
    .name:           _Z6kernelI20flag_heads_and_tailsiLj256ELj8ELb1ELj100EEvPKT0_PS1_
    .private_segment_fixed_size: 0
    .sgpr_count:     16
    .sgpr_spill_count: 0
    .symbol:         _Z6kernelI20flag_heads_and_tailsiLj256ELj8ELb1ELj100EEvPKT0_PS1_.kd
    .uniform_work_group_size: 1
    .uses_dynamic_stack: false
    .vgpr_count:     15
    .vgpr_spill_count: 0
    .wavefront_size: 64
  - .agpr_count:     0
    .args:
      - .address_space:  global
        .offset:         0
        .size:           8
        .value_kind:     global_buffer
      - .address_space:  global
        .offset:         8
        .size:           8
        .value_kind:     global_buffer
    .group_segment_fixed_size: 512
    .kernarg_segment_align: 8
    .kernarg_segment_size: 16
    .language:       OpenCL C
    .language_version:
      - 2
      - 0
    .max_flat_workgroup_size: 256
    .name:           _Z6kernelI20flag_heads_and_tailsaLj256ELj1ELb0ELj100EEvPKT0_PS1_
    .private_segment_fixed_size: 0
    .sgpr_count:     18
    .sgpr_spill_count: 0
    .symbol:         _Z6kernelI20flag_heads_and_tailsaLj256ELj1ELb0ELj100EEvPKT0_PS1_.kd
    .uniform_work_group_size: 1
    .uses_dynamic_stack: false
    .vgpr_count:     6
    .vgpr_spill_count: 0
    .wavefront_size: 64
  - .agpr_count:     0
    .args:
      - .address_space:  global
        .offset:         0
        .size:           8
        .value_kind:     global_buffer
      - .address_space:  global
        .offset:         8
        .size:           8
        .value_kind:     global_buffer
    .group_segment_fixed_size: 512
    .kernarg_segment_align: 8
    .kernarg_segment_size: 16
    .language:       OpenCL C
    .language_version:
      - 2
      - 0
    .max_flat_workgroup_size: 256
    .name:           _Z6kernelI20flag_heads_and_tailsaLj256ELj2ELb0ELj100EEvPKT0_PS1_
    .private_segment_fixed_size: 0
    .sgpr_count:     16
    .sgpr_spill_count: 0
    .symbol:         _Z6kernelI20flag_heads_and_tailsaLj256ELj2ELb0ELj100EEvPKT0_PS1_.kd
    .uniform_work_group_size: 1
    .uses_dynamic_stack: false
    .vgpr_count:     8
    .vgpr_spill_count: 0
    .wavefront_size: 64
  - .agpr_count:     0
    .args:
      - .address_space:  global
        .offset:         0
        .size:           8
        .value_kind:     global_buffer
      - .address_space:  global
        .offset:         8
        .size:           8
        .value_kind:     global_buffer
    .group_segment_fixed_size: 512
    .kernarg_segment_align: 8
    .kernarg_segment_size: 16
    .language:       OpenCL C
    .language_version:
      - 2
      - 0
    .max_flat_workgroup_size: 256
    .name:           _Z6kernelI20flag_heads_and_tailsaLj256ELj3ELb0ELj100EEvPKT0_PS1_
    .private_segment_fixed_size: 0
    .sgpr_count:     18
    .sgpr_spill_count: 0
    .symbol:         _Z6kernelI20flag_heads_and_tailsaLj256ELj3ELb0ELj100EEvPKT0_PS1_.kd
    .uniform_work_group_size: 1
    .uses_dynamic_stack: false
    .vgpr_count:     12
    .vgpr_spill_count: 0
    .wavefront_size: 64
  - .agpr_count:     0
    .args:
      - .address_space:  global
        .offset:         0
        .size:           8
        .value_kind:     global_buffer
      - .address_space:  global
        .offset:         8
        .size:           8
        .value_kind:     global_buffer
    .group_segment_fixed_size: 512
    .kernarg_segment_align: 8
    .kernarg_segment_size: 16
    .language:       OpenCL C
    .language_version:
      - 2
      - 0
    .max_flat_workgroup_size: 256
    .name:           _Z6kernelI20flag_heads_and_tailsaLj256ELj4ELb0ELj100EEvPKT0_PS1_
    .private_segment_fixed_size: 0
    .sgpr_count:     20
    .sgpr_spill_count: 0
    .symbol:         _Z6kernelI20flag_heads_and_tailsaLj256ELj4ELb0ELj100EEvPKT0_PS1_.kd
    .uniform_work_group_size: 1
    .uses_dynamic_stack: false
    .vgpr_count:     12
    .vgpr_spill_count: 0
    .wavefront_size: 64
  - .agpr_count:     0
    .args:
      - .address_space:  global
        .offset:         0
        .size:           8
        .value_kind:     global_buffer
      - .address_space:  global
        .offset:         8
        .size:           8
        .value_kind:     global_buffer
    .group_segment_fixed_size: 512
    .kernarg_segment_align: 8
    .kernarg_segment_size: 16
    .language:       OpenCL C
    .language_version:
      - 2
      - 0
    .max_flat_workgroup_size: 256
    .name:           _Z6kernelI20flag_heads_and_tailsaLj256ELj8ELb0ELj100EEvPKT0_PS1_
    .private_segment_fixed_size: 0
    .sgpr_count:     19
    .sgpr_spill_count: 0
    .symbol:         _Z6kernelI20flag_heads_and_tailsaLj256ELj8ELb0ELj100EEvPKT0_PS1_.kd
    .uniform_work_group_size: 1
    .uses_dynamic_stack: false
    .vgpr_count:     22
    .vgpr_spill_count: 0
    .wavefront_size: 64
  - .agpr_count:     0
    .args:
      - .address_space:  global
        .offset:         0
        .size:           8
        .value_kind:     global_buffer
      - .address_space:  global
        .offset:         8
        .size:           8
        .value_kind:     global_buffer
    .group_segment_fixed_size: 512
    .kernarg_segment_align: 8
    .kernarg_segment_size: 16
    .language:       OpenCL C
    .language_version:
      - 2
      - 0
    .max_flat_workgroup_size: 256
    .name:           _Z6kernelI20flag_heads_and_tailsaLj256ELj1ELb1ELj100EEvPKT0_PS1_
    .private_segment_fixed_size: 0
    .sgpr_count:     15
    .sgpr_spill_count: 0
    .symbol:         _Z6kernelI20flag_heads_and_tailsaLj256ELj1ELb1ELj100EEvPKT0_PS1_.kd
    .uniform_work_group_size: 1
    .uses_dynamic_stack: false
    .vgpr_count:     6
    .vgpr_spill_count: 0
    .wavefront_size: 64
  - .agpr_count:     0
    .args:
      - .address_space:  global
        .offset:         0
        .size:           8
        .value_kind:     global_buffer
      - .address_space:  global
        .offset:         8
        .size:           8
        .value_kind:     global_buffer
    .group_segment_fixed_size: 512
    .kernarg_segment_align: 8
    .kernarg_segment_size: 16
    .language:       OpenCL C
    .language_version:
      - 2
      - 0
    .max_flat_workgroup_size: 256
    .name:           _Z6kernelI20flag_heads_and_tailsaLj256ELj2ELb1ELj100EEvPKT0_PS1_
    .private_segment_fixed_size: 0
    .sgpr_count:     15
    .sgpr_spill_count: 0
    .symbol:         _Z6kernelI20flag_heads_and_tailsaLj256ELj2ELb1ELj100EEvPKT0_PS1_.kd
    .uniform_work_group_size: 1
    .uses_dynamic_stack: false
    .vgpr_count:     8
    .vgpr_spill_count: 0
    .wavefront_size: 64
  - .agpr_count:     0
    .args:
      - .address_space:  global
        .offset:         0
        .size:           8
        .value_kind:     global_buffer
      - .address_space:  global
        .offset:         8
        .size:           8
        .value_kind:     global_buffer
    .group_segment_fixed_size: 512
    .kernarg_segment_align: 8
    .kernarg_segment_size: 16
    .language:       OpenCL C
    .language_version:
      - 2
      - 0
    .max_flat_workgroup_size: 256
    .name:           _Z6kernelI20flag_heads_and_tailsaLj256ELj3ELb1ELj100EEvPKT0_PS1_
    .private_segment_fixed_size: 0
    .sgpr_count:     15
    .sgpr_spill_count: 0
    .symbol:         _Z6kernelI20flag_heads_and_tailsaLj256ELj3ELb1ELj100EEvPKT0_PS1_.kd
    .uniform_work_group_size: 1
    .uses_dynamic_stack: false
    .vgpr_count:     11
    .vgpr_spill_count: 0
    .wavefront_size: 64
  - .agpr_count:     0
    .args:
      - .address_space:  global
        .offset:         0
        .size:           8
        .value_kind:     global_buffer
      - .address_space:  global
        .offset:         8
        .size:           8
        .value_kind:     global_buffer
    .group_segment_fixed_size: 512
    .kernarg_segment_align: 8
    .kernarg_segment_size: 16
    .language:       OpenCL C
    .language_version:
      - 2
      - 0
    .max_flat_workgroup_size: 256
    .name:           _Z6kernelI20flag_heads_and_tailsaLj256ELj4ELb1ELj100EEvPKT0_PS1_
    .private_segment_fixed_size: 0
    .sgpr_count:     15
    .sgpr_spill_count: 0
    .symbol:         _Z6kernelI20flag_heads_and_tailsaLj256ELj4ELb1ELj100EEvPKT0_PS1_.kd
    .uniform_work_group_size: 1
    .uses_dynamic_stack: false
    .vgpr_count:     12
    .vgpr_spill_count: 0
    .wavefront_size: 64
  - .agpr_count:     0
    .args:
      - .address_space:  global
        .offset:         0
        .size:           8
        .value_kind:     global_buffer
      - .address_space:  global
        .offset:         8
        .size:           8
        .value_kind:     global_buffer
    .group_segment_fixed_size: 512
    .kernarg_segment_align: 8
    .kernarg_segment_size: 16
    .language:       OpenCL C
    .language_version:
      - 2
      - 0
    .max_flat_workgroup_size: 256
    .name:           _Z6kernelI20flag_heads_and_tailsaLj256ELj8ELb1ELj100EEvPKT0_PS1_
    .private_segment_fixed_size: 0
    .sgpr_count:     15
    .sgpr_spill_count: 0
    .symbol:         _Z6kernelI20flag_heads_and_tailsaLj256ELj8ELb1ELj100EEvPKT0_PS1_.kd
    .uniform_work_group_size: 1
    .uses_dynamic_stack: false
    .vgpr_count:     19
    .vgpr_spill_count: 0
    .wavefront_size: 64
  - .agpr_count:     0
    .args:
      - .address_space:  global
        .offset:         0
        .size:           8
        .value_kind:     global_buffer
      - .address_space:  global
        .offset:         8
        .size:           8
        .value_kind:     global_buffer
    .group_segment_fixed_size: 512
    .kernarg_segment_align: 8
    .kernarg_segment_size: 16
    .language:       OpenCL C
    .language_version:
      - 2
      - 0
    .max_flat_workgroup_size: 256
    .name:           _Z6kernelI20flag_heads_and_tailshLj256ELj1ELb0ELj100EEvPKT0_PS1_
    .private_segment_fixed_size: 0
    .sgpr_count:     18
    .sgpr_spill_count: 0
    .symbol:         _Z6kernelI20flag_heads_and_tailshLj256ELj1ELb0ELj100EEvPKT0_PS1_.kd
    .uniform_work_group_size: 1
    .uses_dynamic_stack: false
    .vgpr_count:     6
    .vgpr_spill_count: 0
    .wavefront_size: 64
  - .agpr_count:     0
    .args:
      - .address_space:  global
        .offset:         0
        .size:           8
        .value_kind:     global_buffer
      - .address_space:  global
        .offset:         8
        .size:           8
        .value_kind:     global_buffer
    .group_segment_fixed_size: 512
    .kernarg_segment_align: 8
    .kernarg_segment_size: 16
    .language:       OpenCL C
    .language_version:
      - 2
      - 0
    .max_flat_workgroup_size: 256
    .name:           _Z6kernelI20flag_heads_and_tailshLj256ELj2ELb0ELj100EEvPKT0_PS1_
    .private_segment_fixed_size: 0
    .sgpr_count:     16
    .sgpr_spill_count: 0
    .symbol:         _Z6kernelI20flag_heads_and_tailshLj256ELj2ELb0ELj100EEvPKT0_PS1_.kd
    .uniform_work_group_size: 1
    .uses_dynamic_stack: false
    .vgpr_count:     8
    .vgpr_spill_count: 0
    .wavefront_size: 64
  - .agpr_count:     0
    .args:
      - .address_space:  global
        .offset:         0
        .size:           8
        .value_kind:     global_buffer
      - .address_space:  global
        .offset:         8
        .size:           8
        .value_kind:     global_buffer
    .group_segment_fixed_size: 512
    .kernarg_segment_align: 8
    .kernarg_segment_size: 16
    .language:       OpenCL C
    .language_version:
      - 2
      - 0
    .max_flat_workgroup_size: 256
    .name:           _Z6kernelI20flag_heads_and_tailshLj256ELj3ELb0ELj100EEvPKT0_PS1_
    .private_segment_fixed_size: 0
    .sgpr_count:     18
    .sgpr_spill_count: 0
    .symbol:         _Z6kernelI20flag_heads_and_tailshLj256ELj3ELb0ELj100EEvPKT0_PS1_.kd
    .uniform_work_group_size: 1
    .uses_dynamic_stack: false
    .vgpr_count:     12
    .vgpr_spill_count: 0
    .wavefront_size: 64
  - .agpr_count:     0
    .args:
      - .address_space:  global
        .offset:         0
        .size:           8
        .value_kind:     global_buffer
      - .address_space:  global
        .offset:         8
        .size:           8
        .value_kind:     global_buffer
    .group_segment_fixed_size: 512
    .kernarg_segment_align: 8
    .kernarg_segment_size: 16
    .language:       OpenCL C
    .language_version:
      - 2
      - 0
    .max_flat_workgroup_size: 256
    .name:           _Z6kernelI20flag_heads_and_tailshLj256ELj4ELb0ELj100EEvPKT0_PS1_
    .private_segment_fixed_size: 0
    .sgpr_count:     20
    .sgpr_spill_count: 0
    .symbol:         _Z6kernelI20flag_heads_and_tailshLj256ELj4ELb0ELj100EEvPKT0_PS1_.kd
    .uniform_work_group_size: 1
    .uses_dynamic_stack: false
    .vgpr_count:     12
    .vgpr_spill_count: 0
    .wavefront_size: 64
  - .agpr_count:     0
    .args:
      - .address_space:  global
        .offset:         0
        .size:           8
        .value_kind:     global_buffer
      - .address_space:  global
        .offset:         8
        .size:           8
        .value_kind:     global_buffer
    .group_segment_fixed_size: 512
    .kernarg_segment_align: 8
    .kernarg_segment_size: 16
    .language:       OpenCL C
    .language_version:
      - 2
      - 0
    .max_flat_workgroup_size: 256
    .name:           _Z6kernelI20flag_heads_and_tailshLj256ELj8ELb0ELj100EEvPKT0_PS1_
    .private_segment_fixed_size: 0
    .sgpr_count:     19
    .sgpr_spill_count: 0
    .symbol:         _Z6kernelI20flag_heads_and_tailshLj256ELj8ELb0ELj100EEvPKT0_PS1_.kd
    .uniform_work_group_size: 1
    .uses_dynamic_stack: false
    .vgpr_count:     22
    .vgpr_spill_count: 0
    .wavefront_size: 64
  - .agpr_count:     0
    .args:
      - .address_space:  global
        .offset:         0
        .size:           8
        .value_kind:     global_buffer
      - .address_space:  global
        .offset:         8
        .size:           8
        .value_kind:     global_buffer
    .group_segment_fixed_size: 512
    .kernarg_segment_align: 8
    .kernarg_segment_size: 16
    .language:       OpenCL C
    .language_version:
      - 2
      - 0
    .max_flat_workgroup_size: 256
    .name:           _Z6kernelI20flag_heads_and_tailshLj256ELj1ELb1ELj100EEvPKT0_PS1_
    .private_segment_fixed_size: 0
    .sgpr_count:     15
    .sgpr_spill_count: 0
    .symbol:         _Z6kernelI20flag_heads_and_tailshLj256ELj1ELb1ELj100EEvPKT0_PS1_.kd
    .uniform_work_group_size: 1
    .uses_dynamic_stack: false
    .vgpr_count:     6
    .vgpr_spill_count: 0
    .wavefront_size: 64
  - .agpr_count:     0
    .args:
      - .address_space:  global
        .offset:         0
        .size:           8
        .value_kind:     global_buffer
      - .address_space:  global
        .offset:         8
        .size:           8
        .value_kind:     global_buffer
    .group_segment_fixed_size: 512
    .kernarg_segment_align: 8
    .kernarg_segment_size: 16
    .language:       OpenCL C
    .language_version:
      - 2
      - 0
    .max_flat_workgroup_size: 256
    .name:           _Z6kernelI20flag_heads_and_tailshLj256ELj2ELb1ELj100EEvPKT0_PS1_
    .private_segment_fixed_size: 0
    .sgpr_count:     15
    .sgpr_spill_count: 0
    .symbol:         _Z6kernelI20flag_heads_and_tailshLj256ELj2ELb1ELj100EEvPKT0_PS1_.kd
    .uniform_work_group_size: 1
    .uses_dynamic_stack: false
    .vgpr_count:     8
    .vgpr_spill_count: 0
    .wavefront_size: 64
  - .agpr_count:     0
    .args:
      - .address_space:  global
        .offset:         0
        .size:           8
        .value_kind:     global_buffer
      - .address_space:  global
        .offset:         8
        .size:           8
        .value_kind:     global_buffer
    .group_segment_fixed_size: 512
    .kernarg_segment_align: 8
    .kernarg_segment_size: 16
    .language:       OpenCL C
    .language_version:
      - 2
      - 0
    .max_flat_workgroup_size: 256
    .name:           _Z6kernelI20flag_heads_and_tailshLj256ELj3ELb1ELj100EEvPKT0_PS1_
    .private_segment_fixed_size: 0
    .sgpr_count:     15
    .sgpr_spill_count: 0
    .symbol:         _Z6kernelI20flag_heads_and_tailshLj256ELj3ELb1ELj100EEvPKT0_PS1_.kd
    .uniform_work_group_size: 1
    .uses_dynamic_stack: false
    .vgpr_count:     11
    .vgpr_spill_count: 0
    .wavefront_size: 64
  - .agpr_count:     0
    .args:
      - .address_space:  global
        .offset:         0
        .size:           8
        .value_kind:     global_buffer
      - .address_space:  global
        .offset:         8
        .size:           8
        .value_kind:     global_buffer
    .group_segment_fixed_size: 512
    .kernarg_segment_align: 8
    .kernarg_segment_size: 16
    .language:       OpenCL C
    .language_version:
      - 2
      - 0
    .max_flat_workgroup_size: 256
    .name:           _Z6kernelI20flag_heads_and_tailshLj256ELj4ELb1ELj100EEvPKT0_PS1_
    .private_segment_fixed_size: 0
    .sgpr_count:     15
    .sgpr_spill_count: 0
    .symbol:         _Z6kernelI20flag_heads_and_tailshLj256ELj4ELb1ELj100EEvPKT0_PS1_.kd
    .uniform_work_group_size: 1
    .uses_dynamic_stack: false
    .vgpr_count:     12
    .vgpr_spill_count: 0
    .wavefront_size: 64
  - .agpr_count:     0
    .args:
      - .address_space:  global
        .offset:         0
        .size:           8
        .value_kind:     global_buffer
      - .address_space:  global
        .offset:         8
        .size:           8
        .value_kind:     global_buffer
    .group_segment_fixed_size: 512
    .kernarg_segment_align: 8
    .kernarg_segment_size: 16
    .language:       OpenCL C
    .language_version:
      - 2
      - 0
    .max_flat_workgroup_size: 256
    .name:           _Z6kernelI20flag_heads_and_tailshLj256ELj8ELb1ELj100EEvPKT0_PS1_
    .private_segment_fixed_size: 0
    .sgpr_count:     15
    .sgpr_spill_count: 0
    .symbol:         _Z6kernelI20flag_heads_and_tailshLj256ELj8ELb1ELj100EEvPKT0_PS1_.kd
    .uniform_work_group_size: 1
    .uses_dynamic_stack: false
    .vgpr_count:     19
    .vgpr_spill_count: 0
    .wavefront_size: 64
  - .agpr_count:     0
    .args:
      - .address_space:  global
        .offset:         0
        .size:           8
        .value_kind:     global_buffer
      - .address_space:  global
        .offset:         8
        .size:           8
        .value_kind:     global_buffer
    .group_segment_fixed_size: 4096
    .kernarg_segment_align: 8
    .kernarg_segment_size: 16
    .language:       OpenCL C
    .language_version:
      - 2
      - 0
    .max_flat_workgroup_size: 256
    .name:           _Z6kernelI20flag_heads_and_tailsxLj256ELj1ELb0ELj100EEvPKT0_PS1_
    .private_segment_fixed_size: 0
    .sgpr_count:     18
    .sgpr_spill_count: 0
    .symbol:         _Z6kernelI20flag_heads_and_tailsxLj256ELj1ELb0ELj100EEvPKT0_PS1_.kd
    .uniform_work_group_size: 1
    .uses_dynamic_stack: false
    .vgpr_count:     10
    .vgpr_spill_count: 0
    .wavefront_size: 64
  - .agpr_count:     0
    .args:
      - .address_space:  global
        .offset:         0
        .size:           8
        .value_kind:     global_buffer
      - .address_space:  global
        .offset:         8
        .size:           8
        .value_kind:     global_buffer
    .group_segment_fixed_size: 4096
    .kernarg_segment_align: 8
    .kernarg_segment_size: 16
    .language:       OpenCL C
    .language_version:
      - 2
      - 0
    .max_flat_workgroup_size: 256
    .name:           _Z6kernelI20flag_heads_and_tailsxLj256ELj2ELb0ELj100EEvPKT0_PS1_
    .private_segment_fixed_size: 0
    .sgpr_count:     17
    .sgpr_spill_count: 0
    .symbol:         _Z6kernelI20flag_heads_and_tailsxLj256ELj2ELb0ELj100EEvPKT0_PS1_.kd
    .uniform_work_group_size: 1
    .uses_dynamic_stack: false
    .vgpr_count:     14
    .vgpr_spill_count: 0
    .wavefront_size: 64
  - .agpr_count:     0
    .args:
      - .address_space:  global
        .offset:         0
        .size:           8
        .value_kind:     global_buffer
      - .address_space:  global
        .offset:         8
        .size:           8
        .value_kind:     global_buffer
    .group_segment_fixed_size: 4096
    .kernarg_segment_align: 8
    .kernarg_segment_size: 16
    .language:       OpenCL C
    .language_version:
      - 2
      - 0
    .max_flat_workgroup_size: 256
    .name:           _Z6kernelI20flag_heads_and_tailsxLj256ELj3ELb0ELj100EEvPKT0_PS1_
    .private_segment_fixed_size: 0
    .sgpr_count:     18
    .sgpr_spill_count: 0
    .symbol:         _Z6kernelI20flag_heads_and_tailsxLj256ELj3ELb0ELj100EEvPKT0_PS1_.kd
    .uniform_work_group_size: 1
    .uses_dynamic_stack: false
    .vgpr_count:     20
    .vgpr_spill_count: 0
    .wavefront_size: 64
  - .agpr_count:     0
    .args:
      - .address_space:  global
        .offset:         0
        .size:           8
        .value_kind:     global_buffer
      - .address_space:  global
        .offset:         8
        .size:           8
        .value_kind:     global_buffer
    .group_segment_fixed_size: 4096
    .kernarg_segment_align: 8
    .kernarg_segment_size: 16
    .language:       OpenCL C
    .language_version:
      - 2
      - 0
    .max_flat_workgroup_size: 256
    .name:           _Z6kernelI20flag_heads_and_tailsxLj256ELj4ELb0ELj100EEvPKT0_PS1_
    .private_segment_fixed_size: 0
    .sgpr_count:     18
    .sgpr_spill_count: 0
    .symbol:         _Z6kernelI20flag_heads_and_tailsxLj256ELj4ELb0ELj100EEvPKT0_PS1_.kd
    .uniform_work_group_size: 1
    .uses_dynamic_stack: false
    .vgpr_count:     18
    .vgpr_spill_count: 0
    .wavefront_size: 64
  - .agpr_count:     0
    .args:
      - .address_space:  global
        .offset:         0
        .size:           8
        .value_kind:     global_buffer
      - .address_space:  global
        .offset:         8
        .size:           8
        .value_kind:     global_buffer
    .group_segment_fixed_size: 4096
    .kernarg_segment_align: 8
    .kernarg_segment_size: 16
    .language:       OpenCL C
    .language_version:
      - 2
      - 0
    .max_flat_workgroup_size: 256
    .name:           _Z6kernelI20flag_heads_and_tailsxLj256ELj8ELb0ELj100EEvPKT0_PS1_
    .private_segment_fixed_size: 0
    .sgpr_count:     20
    .sgpr_spill_count: 0
    .symbol:         _Z6kernelI20flag_heads_and_tailsxLj256ELj8ELb0ELj100EEvPKT0_PS1_.kd
    .uniform_work_group_size: 1
    .uses_dynamic_stack: false
    .vgpr_count:     35
    .vgpr_spill_count: 0
    .wavefront_size: 64
  - .agpr_count:     0
    .args:
      - .address_space:  global
        .offset:         0
        .size:           8
        .value_kind:     global_buffer
      - .address_space:  global
        .offset:         8
        .size:           8
        .value_kind:     global_buffer
    .group_segment_fixed_size: 4096
    .kernarg_segment_align: 8
    .kernarg_segment_size: 16
    .language:       OpenCL C
    .language_version:
      - 2
      - 0
    .max_flat_workgroup_size: 256
    .name:           _Z6kernelI20flag_heads_and_tailsxLj256ELj1ELb1ELj100EEvPKT0_PS1_
    .private_segment_fixed_size: 0
    .sgpr_count:     18
    .sgpr_spill_count: 0
    .symbol:         _Z6kernelI20flag_heads_and_tailsxLj256ELj1ELb1ELj100EEvPKT0_PS1_.kd
    .uniform_work_group_size: 1
    .uses_dynamic_stack: false
    .vgpr_count:     10
    .vgpr_spill_count: 0
    .wavefront_size: 64
  - .agpr_count:     0
    .args:
      - .address_space:  global
        .offset:         0
        .size:           8
        .value_kind:     global_buffer
      - .address_space:  global
        .offset:         8
        .size:           8
        .value_kind:     global_buffer
    .group_segment_fixed_size: 4096
    .kernarg_segment_align: 8
    .kernarg_segment_size: 16
    .language:       OpenCL C
    .language_version:
      - 2
      - 0
    .max_flat_workgroup_size: 256
    .name:           _Z6kernelI20flag_heads_and_tailsxLj256ELj2ELb1ELj100EEvPKT0_PS1_
    .private_segment_fixed_size: 0
    .sgpr_count:     18
    .sgpr_spill_count: 0
    .symbol:         _Z6kernelI20flag_heads_and_tailsxLj256ELj2ELb1ELj100EEvPKT0_PS1_.kd
    .uniform_work_group_size: 1
    .uses_dynamic_stack: false
    .vgpr_count:     14
    .vgpr_spill_count: 0
    .wavefront_size: 64
  - .agpr_count:     0
    .args:
      - .address_space:  global
        .offset:         0
        .size:           8
        .value_kind:     global_buffer
      - .address_space:  global
        .offset:         8
        .size:           8
        .value_kind:     global_buffer
    .group_segment_fixed_size: 4096
    .kernarg_segment_align: 8
    .kernarg_segment_size: 16
    .language:       OpenCL C
    .language_version:
      - 2
      - 0
    .max_flat_workgroup_size: 256
    .name:           _Z6kernelI20flag_heads_and_tailsxLj256ELj3ELb1ELj100EEvPKT0_PS1_
    .private_segment_fixed_size: 0
    .sgpr_count:     18
    .sgpr_spill_count: 0
    .symbol:         _Z6kernelI20flag_heads_and_tailsxLj256ELj3ELb1ELj100EEvPKT0_PS1_.kd
    .uniform_work_group_size: 1
    .uses_dynamic_stack: false
    .vgpr_count:     16
    .vgpr_spill_count: 0
    .wavefront_size: 64
  - .agpr_count:     0
    .args:
      - .address_space:  global
        .offset:         0
        .size:           8
        .value_kind:     global_buffer
      - .address_space:  global
        .offset:         8
        .size:           8
        .value_kind:     global_buffer
    .group_segment_fixed_size: 4096
    .kernarg_segment_align: 8
    .kernarg_segment_size: 16
    .language:       OpenCL C
    .language_version:
      - 2
      - 0
    .max_flat_workgroup_size: 256
    .name:           _Z6kernelI20flag_heads_and_tailsxLj256ELj4ELb1ELj100EEvPKT0_PS1_
    .private_segment_fixed_size: 0
    .sgpr_count:     18
    .sgpr_spill_count: 0
    .symbol:         _Z6kernelI20flag_heads_and_tailsxLj256ELj4ELb1ELj100EEvPKT0_PS1_.kd
    .uniform_work_group_size: 1
    .uses_dynamic_stack: false
    .vgpr_count:     18
    .vgpr_spill_count: 0
    .wavefront_size: 64
  - .agpr_count:     0
    .args:
      - .address_space:  global
        .offset:         0
        .size:           8
        .value_kind:     global_buffer
      - .address_space:  global
        .offset:         8
        .size:           8
        .value_kind:     global_buffer
    .group_segment_fixed_size: 4096
    .kernarg_segment_align: 8
    .kernarg_segment_size: 16
    .language:       OpenCL C
    .language_version:
      - 2
      - 0
    .max_flat_workgroup_size: 256
    .name:           _Z6kernelI20flag_heads_and_tailsxLj256ELj8ELb1ELj100EEvPKT0_PS1_
    .private_segment_fixed_size: 0
    .sgpr_count:     18
    .sgpr_spill_count: 0
    .symbol:         _Z6kernelI20flag_heads_and_tailsxLj256ELj8ELb1ELj100EEvPKT0_PS1_.kd
    .uniform_work_group_size: 1
    .uses_dynamic_stack: false
    .vgpr_count:     26
    .vgpr_spill_count: 0
    .wavefront_size: 64
amdhsa.target:   amdgcn-amd-amdhsa--gfx942
amdhsa.version:
  - 1
  - 2
...

	.end_amdgpu_metadata
